;; amdgpu-corpus repo=ROCm/vllm kind=compiled arch=gfx1201 opt=O3
	.amdgcn_target "amdgcn-amd-amdhsa--gfx1201"
	.amdhsa_code_object_version 6
	.section	.text._ZN4vllm18copy_blocks_kernelIfEEvPlS1_PKli,"axG",@progbits,_ZN4vllm18copy_blocks_kernelIfEEvPlS1_PKli,comdat
	.protected	_ZN4vllm18copy_blocks_kernelIfEEvPlS1_PKli ; -- Begin function _ZN4vllm18copy_blocks_kernelIfEEvPlS1_PKli
	.globl	_ZN4vllm18copy_blocks_kernelIfEEvPlS1_PKli
	.p2align	8
	.type	_ZN4vllm18copy_blocks_kernelIfEEvPlS1_PKli,@function
_ZN4vllm18copy_blocks_kernelIfEEvPlS1_PKli: ; @_ZN4vllm18copy_blocks_kernelIfEEvPlS1_PKli
; %bb.0:
	s_load_b32 s2, s[0:1], 0x18
	s_mov_b32 s3, exec_lo
	s_wait_kmcnt 0x0
	v_cmpx_gt_i32_e64 s2, v0
	s_cbranch_execz .LBB0_5
; %bb.1:
	s_clause 0x1
	s_load_b64 s[10:11], s[0:1], 0x10
	s_load_b128 s[4:7], s[0:1], 0x0
	s_lshl_b32 s12, ttmp7, 1
	s_mov_b32 s8, ttmp9
	s_ashr_i32 s13, s12, 31
	s_ashr_i32 s9, ttmp9, 31
	s_lshl_b64 s[12:13], s[12:13], 3
	s_load_b32 s16, s[0:1], 0x2c
	s_ashr_i32 s3, s2, 31
	v_mov_b32_e32 v1, v0
	s_wait_kmcnt 0x0
	s_add_nc_u64 s[0:1], s[10:11], s[12:13]
	s_lshl_b64 s[12:13], s[8:9], 3
	s_load_b128 s[8:11], s[0:1], 0x0
	s_add_nc_u64 s[0:1], s[4:5], s[12:13]
	s_load_b64 s[14:15], s[0:1], 0x0
	s_add_nc_u64 s[0:1], s[6:7], s[12:13]
	s_load_b64 s[4:5], s[0:1], 0x0
	s_and_b32 s1, s16, 0xffff
	s_wait_kmcnt 0x0
	s_mul_u64 s[6:7], s[8:9], s[2:3]
	s_mul_u64 s[8:9], s[10:11], s[2:3]
	s_lshl_b64 s[6:7], s[6:7], 2
	s_lshl_b64 s[8:9], s[8:9], 2
	s_add_nc_u64 s[10:11], s[14:15], s[6:7]
	s_add_nc_u64 s[12:13], s[14:15], s[8:9]
	s_mov_b32 s3, 0
.LBB0_2:                                ; =>This Inner Loop Header: Depth=1
	v_ashrrev_i32_e32 v2, 31, v1
	s_delay_alu instid0(VALU_DEP_1) | instskip(SKIP_1) | instid1(VALU_DEP_2)
	v_lshlrev_b64_e32 v[2:3], 2, v[1:2]
	v_add_nc_u32_e32 v1, s1, v1
	v_add_co_u32 v4, vcc_lo, s10, v2
	s_wait_alu 0xfffd
	s_delay_alu instid0(VALU_DEP_3) | instskip(NEXT) | instid1(VALU_DEP_3)
	v_add_co_ci_u32_e64 v5, null, s11, v3, vcc_lo
	v_cmp_le_i32_e32 vcc_lo, s2, v1
	v_add_co_u32 v2, s0, s12, v2
	flat_load_b32 v4, v[4:5]
	s_wait_alu 0xf1ff
	v_add_co_ci_u32_e64 v3, null, s13, v3, s0
	s_wait_alu 0xfffe
	s_or_b32 s3, vcc_lo, s3
	s_wait_loadcnt_dscnt 0x0
	flat_store_b32 v[2:3], v4
	s_wait_alu 0xfffe
	s_and_not1_b32 exec_lo, exec_lo, s3
	s_cbranch_execnz .LBB0_2
; %bb.3:
	s_or_b32 exec_lo, exec_lo, s3
	s_add_nc_u64 s[6:7], s[4:5], s[6:7]
	s_add_nc_u64 s[4:5], s[4:5], s[8:9]
	s_mov_b32 s3, 0
.LBB0_4:                                ; =>This Inner Loop Header: Depth=1
	v_ashrrev_i32_e32 v1, 31, v0
	s_delay_alu instid0(VALU_DEP_1) | instskip(SKIP_1) | instid1(VALU_DEP_2)
	v_lshlrev_b64_e32 v[1:2], 2, v[0:1]
	v_add_nc_u32_e32 v0, s1, v0
	v_add_co_u32 v3, vcc_lo, s6, v1
	s_wait_alu 0xfffd
	s_delay_alu instid0(VALU_DEP_3) | instskip(NEXT) | instid1(VALU_DEP_3)
	v_add_co_ci_u32_e64 v4, null, s7, v2, vcc_lo
	v_cmp_le_i32_e32 vcc_lo, s2, v0
	v_add_co_u32 v1, s0, s4, v1
	flat_load_b32 v3, v[3:4]
	s_wait_alu 0xf1ff
	v_add_co_ci_u32_e64 v2, null, s5, v2, s0
	s_wait_alu 0xfffe
	s_or_b32 s3, vcc_lo, s3
	s_wait_loadcnt_dscnt 0x0
	flat_store_b32 v[1:2], v3
	s_wait_alu 0xfffe
	s_and_not1_b32 exec_lo, exec_lo, s3
	s_cbranch_execnz .LBB0_4
.LBB0_5:
	s_endpgm
	.section	.rodata,"a",@progbits
	.p2align	6, 0x0
	.amdhsa_kernel _ZN4vllm18copy_blocks_kernelIfEEvPlS1_PKli
		.amdhsa_group_segment_fixed_size 0
		.amdhsa_private_segment_fixed_size 0
		.amdhsa_kernarg_size 288
		.amdhsa_user_sgpr_count 2
		.amdhsa_user_sgpr_dispatch_ptr 0
		.amdhsa_user_sgpr_queue_ptr 0
		.amdhsa_user_sgpr_kernarg_segment_ptr 1
		.amdhsa_user_sgpr_dispatch_id 0
		.amdhsa_user_sgpr_private_segment_size 0
		.amdhsa_wavefront_size32 1
		.amdhsa_uses_dynamic_stack 0
		.amdhsa_enable_private_segment 0
		.amdhsa_system_sgpr_workgroup_id_x 1
		.amdhsa_system_sgpr_workgroup_id_y 1
		.amdhsa_system_sgpr_workgroup_id_z 0
		.amdhsa_system_sgpr_workgroup_info 0
		.amdhsa_system_vgpr_workitem_id 0
		.amdhsa_next_free_vgpr 6
		.amdhsa_next_free_sgpr 17
		.amdhsa_reserve_vcc 1
		.amdhsa_float_round_mode_32 0
		.amdhsa_float_round_mode_16_64 0
		.amdhsa_float_denorm_mode_32 3
		.amdhsa_float_denorm_mode_16_64 3
		.amdhsa_fp16_overflow 0
		.amdhsa_workgroup_processor_mode 1
		.amdhsa_memory_ordered 1
		.amdhsa_forward_progress 1
		.amdhsa_inst_pref_size 4
		.amdhsa_round_robin_scheduling 0
		.amdhsa_exception_fp_ieee_invalid_op 0
		.amdhsa_exception_fp_denorm_src 0
		.amdhsa_exception_fp_ieee_div_zero 0
		.amdhsa_exception_fp_ieee_overflow 0
		.amdhsa_exception_fp_ieee_underflow 0
		.amdhsa_exception_fp_ieee_inexact 0
		.amdhsa_exception_int_div_zero 0
	.end_amdhsa_kernel
	.section	.text._ZN4vllm18copy_blocks_kernelIfEEvPlS1_PKli,"axG",@progbits,_ZN4vllm18copy_blocks_kernelIfEEvPlS1_PKli,comdat
.Lfunc_end0:
	.size	_ZN4vllm18copy_blocks_kernelIfEEvPlS1_PKli, .Lfunc_end0-_ZN4vllm18copy_blocks_kernelIfEEvPlS1_PKli
                                        ; -- End function
	.set _ZN4vllm18copy_blocks_kernelIfEEvPlS1_PKli.num_vgpr, 6
	.set _ZN4vllm18copy_blocks_kernelIfEEvPlS1_PKli.num_agpr, 0
	.set _ZN4vllm18copy_blocks_kernelIfEEvPlS1_PKli.numbered_sgpr, 17
	.set _ZN4vllm18copy_blocks_kernelIfEEvPlS1_PKli.num_named_barrier, 0
	.set _ZN4vllm18copy_blocks_kernelIfEEvPlS1_PKli.private_seg_size, 0
	.set _ZN4vllm18copy_blocks_kernelIfEEvPlS1_PKli.uses_vcc, 1
	.set _ZN4vllm18copy_blocks_kernelIfEEvPlS1_PKli.uses_flat_scratch, 0
	.set _ZN4vllm18copy_blocks_kernelIfEEvPlS1_PKli.has_dyn_sized_stack, 0
	.set _ZN4vllm18copy_blocks_kernelIfEEvPlS1_PKli.has_recursion, 0
	.set _ZN4vllm18copy_blocks_kernelIfEEvPlS1_PKli.has_indirect_call, 0
	.section	.AMDGPU.csdata,"",@progbits
; Kernel info:
; codeLenInByte = 412
; TotalNumSgprs: 19
; NumVgprs: 6
; ScratchSize: 0
; MemoryBound: 0
; FloatMode: 240
; IeeeMode: 1
; LDSByteSize: 0 bytes/workgroup (compile time only)
; SGPRBlocks: 0
; VGPRBlocks: 0
; NumSGPRsForWavesPerEU: 19
; NumVGPRsForWavesPerEU: 6
; Occupancy: 16
; WaveLimiterHint : 1
; COMPUTE_PGM_RSRC2:SCRATCH_EN: 0
; COMPUTE_PGM_RSRC2:USER_SGPR: 2
; COMPUTE_PGM_RSRC2:TRAP_HANDLER: 0
; COMPUTE_PGM_RSRC2:TGID_X_EN: 1
; COMPUTE_PGM_RSRC2:TGID_Y_EN: 1
; COMPUTE_PGM_RSRC2:TGID_Z_EN: 0
; COMPUTE_PGM_RSRC2:TIDIG_COMP_CNT: 0
	.section	.text._ZN4vllm18copy_blocks_kernelIN3c104HalfEEEvPlS3_PKli,"axG",@progbits,_ZN4vllm18copy_blocks_kernelIN3c104HalfEEEvPlS3_PKli,comdat
	.protected	_ZN4vllm18copy_blocks_kernelIN3c104HalfEEEvPlS3_PKli ; -- Begin function _ZN4vllm18copy_blocks_kernelIN3c104HalfEEEvPlS3_PKli
	.globl	_ZN4vllm18copy_blocks_kernelIN3c104HalfEEEvPlS3_PKli
	.p2align	8
	.type	_ZN4vllm18copy_blocks_kernelIN3c104HalfEEEvPlS3_PKli,@function
_ZN4vllm18copy_blocks_kernelIN3c104HalfEEEvPlS3_PKli: ; @_ZN4vllm18copy_blocks_kernelIN3c104HalfEEEvPlS3_PKli
; %bb.0:
	s_load_b32 s2, s[0:1], 0x18
	s_mov_b32 s3, exec_lo
	s_wait_kmcnt 0x0
	v_cmpx_gt_i32_e64 s2, v0
	s_cbranch_execz .LBB1_5
; %bb.1:
	s_clause 0x1
	s_load_b64 s[10:11], s[0:1], 0x10
	s_load_b128 s[4:7], s[0:1], 0x0
	s_lshl_b32 s12, ttmp7, 1
	s_mov_b32 s8, ttmp9
	s_ashr_i32 s13, s12, 31
	s_ashr_i32 s9, ttmp9, 31
	s_lshl_b64 s[12:13], s[12:13], 3
	s_load_b32 s16, s[0:1], 0x2c
	s_ashr_i32 s3, s2, 31
	v_mov_b32_e32 v1, v0
	s_wait_kmcnt 0x0
	s_add_nc_u64 s[0:1], s[10:11], s[12:13]
	s_lshl_b64 s[12:13], s[8:9], 3
	s_load_b128 s[8:11], s[0:1], 0x0
	s_add_nc_u64 s[0:1], s[4:5], s[12:13]
	s_load_b64 s[14:15], s[0:1], 0x0
	s_add_nc_u64 s[0:1], s[6:7], s[12:13]
	s_load_b64 s[4:5], s[0:1], 0x0
	s_and_b32 s1, s16, 0xffff
	s_wait_kmcnt 0x0
	s_mul_u64 s[6:7], s[8:9], s[2:3]
	s_mul_u64 s[8:9], s[10:11], s[2:3]
	s_lshl_b64 s[6:7], s[6:7], 1
	s_lshl_b64 s[8:9], s[8:9], 1
	s_add_nc_u64 s[10:11], s[14:15], s[6:7]
	s_add_nc_u64 s[12:13], s[14:15], s[8:9]
	s_mov_b32 s3, 0
.LBB1_2:                                ; =>This Inner Loop Header: Depth=1
	v_ashrrev_i32_e32 v2, 31, v1
	s_delay_alu instid0(VALU_DEP_1) | instskip(SKIP_1) | instid1(VALU_DEP_2)
	v_lshlrev_b64_e32 v[2:3], 1, v[1:2]
	v_add_nc_u32_e32 v1, s1, v1
	v_add_co_u32 v4, vcc_lo, s10, v2
	s_wait_alu 0xfffd
	s_delay_alu instid0(VALU_DEP_3) | instskip(NEXT) | instid1(VALU_DEP_3)
	v_add_co_ci_u32_e64 v5, null, s11, v3, vcc_lo
	v_cmp_le_i32_e32 vcc_lo, s2, v1
	v_add_co_u32 v2, s0, s12, v2
	flat_load_u16 v4, v[4:5]
	s_wait_alu 0xf1ff
	v_add_co_ci_u32_e64 v3, null, s13, v3, s0
	s_wait_alu 0xfffe
	s_or_b32 s3, vcc_lo, s3
	s_wait_loadcnt_dscnt 0x0
	flat_store_b16 v[2:3], v4
	s_wait_alu 0xfffe
	s_and_not1_b32 exec_lo, exec_lo, s3
	s_cbranch_execnz .LBB1_2
; %bb.3:
	s_or_b32 exec_lo, exec_lo, s3
	s_add_nc_u64 s[6:7], s[4:5], s[6:7]
	s_add_nc_u64 s[4:5], s[4:5], s[8:9]
	s_mov_b32 s3, 0
.LBB1_4:                                ; =>This Inner Loop Header: Depth=1
	v_ashrrev_i32_e32 v1, 31, v0
	s_delay_alu instid0(VALU_DEP_1) | instskip(SKIP_1) | instid1(VALU_DEP_2)
	v_lshlrev_b64_e32 v[1:2], 1, v[0:1]
	v_add_nc_u32_e32 v0, s1, v0
	v_add_co_u32 v3, vcc_lo, s6, v1
	s_wait_alu 0xfffd
	s_delay_alu instid0(VALU_DEP_3) | instskip(NEXT) | instid1(VALU_DEP_3)
	v_add_co_ci_u32_e64 v4, null, s7, v2, vcc_lo
	v_cmp_le_i32_e32 vcc_lo, s2, v0
	v_add_co_u32 v1, s0, s4, v1
	flat_load_u16 v3, v[3:4]
	s_wait_alu 0xf1ff
	v_add_co_ci_u32_e64 v2, null, s5, v2, s0
	s_wait_alu 0xfffe
	s_or_b32 s3, vcc_lo, s3
	s_wait_loadcnt_dscnt 0x0
	flat_store_b16 v[1:2], v3
	s_wait_alu 0xfffe
	s_and_not1_b32 exec_lo, exec_lo, s3
	s_cbranch_execnz .LBB1_4
.LBB1_5:
	s_endpgm
	.section	.rodata,"a",@progbits
	.p2align	6, 0x0
	.amdhsa_kernel _ZN4vllm18copy_blocks_kernelIN3c104HalfEEEvPlS3_PKli
		.amdhsa_group_segment_fixed_size 0
		.amdhsa_private_segment_fixed_size 0
		.amdhsa_kernarg_size 288
		.amdhsa_user_sgpr_count 2
		.amdhsa_user_sgpr_dispatch_ptr 0
		.amdhsa_user_sgpr_queue_ptr 0
		.amdhsa_user_sgpr_kernarg_segment_ptr 1
		.amdhsa_user_sgpr_dispatch_id 0
		.amdhsa_user_sgpr_private_segment_size 0
		.amdhsa_wavefront_size32 1
		.amdhsa_uses_dynamic_stack 0
		.amdhsa_enable_private_segment 0
		.amdhsa_system_sgpr_workgroup_id_x 1
		.amdhsa_system_sgpr_workgroup_id_y 1
		.amdhsa_system_sgpr_workgroup_id_z 0
		.amdhsa_system_sgpr_workgroup_info 0
		.amdhsa_system_vgpr_workitem_id 0
		.amdhsa_next_free_vgpr 6
		.amdhsa_next_free_sgpr 17
		.amdhsa_reserve_vcc 1
		.amdhsa_float_round_mode_32 0
		.amdhsa_float_round_mode_16_64 0
		.amdhsa_float_denorm_mode_32 3
		.amdhsa_float_denorm_mode_16_64 3
		.amdhsa_fp16_overflow 0
		.amdhsa_workgroup_processor_mode 1
		.amdhsa_memory_ordered 1
		.amdhsa_forward_progress 1
		.amdhsa_inst_pref_size 4
		.amdhsa_round_robin_scheduling 0
		.amdhsa_exception_fp_ieee_invalid_op 0
		.amdhsa_exception_fp_denorm_src 0
		.amdhsa_exception_fp_ieee_div_zero 0
		.amdhsa_exception_fp_ieee_overflow 0
		.amdhsa_exception_fp_ieee_underflow 0
		.amdhsa_exception_fp_ieee_inexact 0
		.amdhsa_exception_int_div_zero 0
	.end_amdhsa_kernel
	.section	.text._ZN4vllm18copy_blocks_kernelIN3c104HalfEEEvPlS3_PKli,"axG",@progbits,_ZN4vllm18copy_blocks_kernelIN3c104HalfEEEvPlS3_PKli,comdat
.Lfunc_end1:
	.size	_ZN4vllm18copy_blocks_kernelIN3c104HalfEEEvPlS3_PKli, .Lfunc_end1-_ZN4vllm18copy_blocks_kernelIN3c104HalfEEEvPlS3_PKli
                                        ; -- End function
	.set _ZN4vllm18copy_blocks_kernelIN3c104HalfEEEvPlS3_PKli.num_vgpr, 6
	.set _ZN4vllm18copy_blocks_kernelIN3c104HalfEEEvPlS3_PKli.num_agpr, 0
	.set _ZN4vllm18copy_blocks_kernelIN3c104HalfEEEvPlS3_PKli.numbered_sgpr, 17
	.set _ZN4vllm18copy_blocks_kernelIN3c104HalfEEEvPlS3_PKli.num_named_barrier, 0
	.set _ZN4vllm18copy_blocks_kernelIN3c104HalfEEEvPlS3_PKli.private_seg_size, 0
	.set _ZN4vllm18copy_blocks_kernelIN3c104HalfEEEvPlS3_PKli.uses_vcc, 1
	.set _ZN4vllm18copy_blocks_kernelIN3c104HalfEEEvPlS3_PKli.uses_flat_scratch, 0
	.set _ZN4vllm18copy_blocks_kernelIN3c104HalfEEEvPlS3_PKli.has_dyn_sized_stack, 0
	.set _ZN4vllm18copy_blocks_kernelIN3c104HalfEEEvPlS3_PKli.has_recursion, 0
	.set _ZN4vllm18copy_blocks_kernelIN3c104HalfEEEvPlS3_PKli.has_indirect_call, 0
	.section	.AMDGPU.csdata,"",@progbits
; Kernel info:
; codeLenInByte = 412
; TotalNumSgprs: 19
; NumVgprs: 6
; ScratchSize: 0
; MemoryBound: 0
; FloatMode: 240
; IeeeMode: 1
; LDSByteSize: 0 bytes/workgroup (compile time only)
; SGPRBlocks: 0
; VGPRBlocks: 0
; NumSGPRsForWavesPerEU: 19
; NumVGPRsForWavesPerEU: 6
; Occupancy: 16
; WaveLimiterHint : 1
; COMPUTE_PGM_RSRC2:SCRATCH_EN: 0
; COMPUTE_PGM_RSRC2:USER_SGPR: 2
; COMPUTE_PGM_RSRC2:TRAP_HANDLER: 0
; COMPUTE_PGM_RSRC2:TGID_X_EN: 1
; COMPUTE_PGM_RSRC2:TGID_Y_EN: 1
; COMPUTE_PGM_RSRC2:TGID_Z_EN: 0
; COMPUTE_PGM_RSRC2:TIDIG_COMP_CNT: 0
	.section	.text._ZN4vllm18copy_blocks_kernelIN3c108BFloat16EEEvPlS3_PKli,"axG",@progbits,_ZN4vllm18copy_blocks_kernelIN3c108BFloat16EEEvPlS3_PKli,comdat
	.protected	_ZN4vllm18copy_blocks_kernelIN3c108BFloat16EEEvPlS3_PKli ; -- Begin function _ZN4vllm18copy_blocks_kernelIN3c108BFloat16EEEvPlS3_PKli
	.globl	_ZN4vllm18copy_blocks_kernelIN3c108BFloat16EEEvPlS3_PKli
	.p2align	8
	.type	_ZN4vllm18copy_blocks_kernelIN3c108BFloat16EEEvPlS3_PKli,@function
_ZN4vllm18copy_blocks_kernelIN3c108BFloat16EEEvPlS3_PKli: ; @_ZN4vllm18copy_blocks_kernelIN3c108BFloat16EEEvPlS3_PKli
; %bb.0:
	s_load_b32 s2, s[0:1], 0x18
	s_mov_b32 s3, exec_lo
	s_wait_kmcnt 0x0
	v_cmpx_gt_i32_e64 s2, v0
	s_cbranch_execz .LBB2_5
; %bb.1:
	s_clause 0x1
	s_load_b64 s[10:11], s[0:1], 0x10
	s_load_b128 s[4:7], s[0:1], 0x0
	s_lshl_b32 s12, ttmp7, 1
	s_mov_b32 s8, ttmp9
	s_ashr_i32 s13, s12, 31
	s_ashr_i32 s9, ttmp9, 31
	s_lshl_b64 s[12:13], s[12:13], 3
	s_load_b32 s16, s[0:1], 0x2c
	s_ashr_i32 s3, s2, 31
	v_mov_b32_e32 v1, v0
	s_wait_kmcnt 0x0
	s_add_nc_u64 s[0:1], s[10:11], s[12:13]
	s_lshl_b64 s[12:13], s[8:9], 3
	s_load_b128 s[8:11], s[0:1], 0x0
	s_add_nc_u64 s[0:1], s[4:5], s[12:13]
	s_load_b64 s[14:15], s[0:1], 0x0
	s_add_nc_u64 s[0:1], s[6:7], s[12:13]
	s_load_b64 s[4:5], s[0:1], 0x0
	s_and_b32 s1, s16, 0xffff
	s_wait_kmcnt 0x0
	s_mul_u64 s[6:7], s[8:9], s[2:3]
	s_mul_u64 s[8:9], s[10:11], s[2:3]
	s_lshl_b64 s[6:7], s[6:7], 1
	s_lshl_b64 s[8:9], s[8:9], 1
	s_add_nc_u64 s[10:11], s[14:15], s[6:7]
	s_add_nc_u64 s[12:13], s[14:15], s[8:9]
	s_mov_b32 s3, 0
.LBB2_2:                                ; =>This Inner Loop Header: Depth=1
	v_ashrrev_i32_e32 v2, 31, v1
	s_delay_alu instid0(VALU_DEP_1) | instskip(SKIP_1) | instid1(VALU_DEP_2)
	v_lshlrev_b64_e32 v[2:3], 1, v[1:2]
	v_add_nc_u32_e32 v1, s1, v1
	v_add_co_u32 v4, vcc_lo, s10, v2
	s_wait_alu 0xfffd
	s_delay_alu instid0(VALU_DEP_3) | instskip(NEXT) | instid1(VALU_DEP_3)
	v_add_co_ci_u32_e64 v5, null, s11, v3, vcc_lo
	v_cmp_le_i32_e32 vcc_lo, s2, v1
	v_add_co_u32 v2, s0, s12, v2
	flat_load_u16 v4, v[4:5]
	s_wait_alu 0xf1ff
	v_add_co_ci_u32_e64 v3, null, s13, v3, s0
	s_wait_alu 0xfffe
	s_or_b32 s3, vcc_lo, s3
	s_wait_loadcnt_dscnt 0x0
	flat_store_b16 v[2:3], v4
	s_wait_alu 0xfffe
	s_and_not1_b32 exec_lo, exec_lo, s3
	s_cbranch_execnz .LBB2_2
; %bb.3:
	s_or_b32 exec_lo, exec_lo, s3
	s_add_nc_u64 s[6:7], s[4:5], s[6:7]
	s_add_nc_u64 s[4:5], s[4:5], s[8:9]
	s_mov_b32 s3, 0
.LBB2_4:                                ; =>This Inner Loop Header: Depth=1
	v_ashrrev_i32_e32 v1, 31, v0
	s_delay_alu instid0(VALU_DEP_1) | instskip(SKIP_1) | instid1(VALU_DEP_2)
	v_lshlrev_b64_e32 v[1:2], 1, v[0:1]
	v_add_nc_u32_e32 v0, s1, v0
	v_add_co_u32 v3, vcc_lo, s6, v1
	s_wait_alu 0xfffd
	s_delay_alu instid0(VALU_DEP_3) | instskip(NEXT) | instid1(VALU_DEP_3)
	v_add_co_ci_u32_e64 v4, null, s7, v2, vcc_lo
	v_cmp_le_i32_e32 vcc_lo, s2, v0
	v_add_co_u32 v1, s0, s4, v1
	flat_load_u16 v3, v[3:4]
	s_wait_alu 0xf1ff
	v_add_co_ci_u32_e64 v2, null, s5, v2, s0
	s_wait_alu 0xfffe
	s_or_b32 s3, vcc_lo, s3
	s_wait_loadcnt_dscnt 0x0
	flat_store_b16 v[1:2], v3
	s_wait_alu 0xfffe
	s_and_not1_b32 exec_lo, exec_lo, s3
	s_cbranch_execnz .LBB2_4
.LBB2_5:
	s_endpgm
	.section	.rodata,"a",@progbits
	.p2align	6, 0x0
	.amdhsa_kernel _ZN4vllm18copy_blocks_kernelIN3c108BFloat16EEEvPlS3_PKli
		.amdhsa_group_segment_fixed_size 0
		.amdhsa_private_segment_fixed_size 0
		.amdhsa_kernarg_size 288
		.amdhsa_user_sgpr_count 2
		.amdhsa_user_sgpr_dispatch_ptr 0
		.amdhsa_user_sgpr_queue_ptr 0
		.amdhsa_user_sgpr_kernarg_segment_ptr 1
		.amdhsa_user_sgpr_dispatch_id 0
		.amdhsa_user_sgpr_private_segment_size 0
		.amdhsa_wavefront_size32 1
		.amdhsa_uses_dynamic_stack 0
		.amdhsa_enable_private_segment 0
		.amdhsa_system_sgpr_workgroup_id_x 1
		.amdhsa_system_sgpr_workgroup_id_y 1
		.amdhsa_system_sgpr_workgroup_id_z 0
		.amdhsa_system_sgpr_workgroup_info 0
		.amdhsa_system_vgpr_workitem_id 0
		.amdhsa_next_free_vgpr 6
		.amdhsa_next_free_sgpr 17
		.amdhsa_reserve_vcc 1
		.amdhsa_float_round_mode_32 0
		.amdhsa_float_round_mode_16_64 0
		.amdhsa_float_denorm_mode_32 3
		.amdhsa_float_denorm_mode_16_64 3
		.amdhsa_fp16_overflow 0
		.amdhsa_workgroup_processor_mode 1
		.amdhsa_memory_ordered 1
		.amdhsa_forward_progress 1
		.amdhsa_inst_pref_size 4
		.amdhsa_round_robin_scheduling 0
		.amdhsa_exception_fp_ieee_invalid_op 0
		.amdhsa_exception_fp_denorm_src 0
		.amdhsa_exception_fp_ieee_div_zero 0
		.amdhsa_exception_fp_ieee_overflow 0
		.amdhsa_exception_fp_ieee_underflow 0
		.amdhsa_exception_fp_ieee_inexact 0
		.amdhsa_exception_int_div_zero 0
	.end_amdhsa_kernel
	.section	.text._ZN4vllm18copy_blocks_kernelIN3c108BFloat16EEEvPlS3_PKli,"axG",@progbits,_ZN4vllm18copy_blocks_kernelIN3c108BFloat16EEEvPlS3_PKli,comdat
.Lfunc_end2:
	.size	_ZN4vllm18copy_blocks_kernelIN3c108BFloat16EEEvPlS3_PKli, .Lfunc_end2-_ZN4vllm18copy_blocks_kernelIN3c108BFloat16EEEvPlS3_PKli
                                        ; -- End function
	.set _ZN4vllm18copy_blocks_kernelIN3c108BFloat16EEEvPlS3_PKli.num_vgpr, 6
	.set _ZN4vllm18copy_blocks_kernelIN3c108BFloat16EEEvPlS3_PKli.num_agpr, 0
	.set _ZN4vllm18copy_blocks_kernelIN3c108BFloat16EEEvPlS3_PKli.numbered_sgpr, 17
	.set _ZN4vllm18copy_blocks_kernelIN3c108BFloat16EEEvPlS3_PKli.num_named_barrier, 0
	.set _ZN4vllm18copy_blocks_kernelIN3c108BFloat16EEEvPlS3_PKli.private_seg_size, 0
	.set _ZN4vllm18copy_blocks_kernelIN3c108BFloat16EEEvPlS3_PKli.uses_vcc, 1
	.set _ZN4vllm18copy_blocks_kernelIN3c108BFloat16EEEvPlS3_PKli.uses_flat_scratch, 0
	.set _ZN4vllm18copy_blocks_kernelIN3c108BFloat16EEEvPlS3_PKli.has_dyn_sized_stack, 0
	.set _ZN4vllm18copy_blocks_kernelIN3c108BFloat16EEEvPlS3_PKli.has_recursion, 0
	.set _ZN4vllm18copy_blocks_kernelIN3c108BFloat16EEEvPlS3_PKli.has_indirect_call, 0
	.section	.AMDGPU.csdata,"",@progbits
; Kernel info:
; codeLenInByte = 412
; TotalNumSgprs: 19
; NumVgprs: 6
; ScratchSize: 0
; MemoryBound: 0
; FloatMode: 240
; IeeeMode: 1
; LDSByteSize: 0 bytes/workgroup (compile time only)
; SGPRBlocks: 0
; VGPRBlocks: 0
; NumSGPRsForWavesPerEU: 19
; NumVGPRsForWavesPerEU: 6
; Occupancy: 16
; WaveLimiterHint : 1
; COMPUTE_PGM_RSRC2:SCRATCH_EN: 0
; COMPUTE_PGM_RSRC2:USER_SGPR: 2
; COMPUTE_PGM_RSRC2:TRAP_HANDLER: 0
; COMPUTE_PGM_RSRC2:TGID_X_EN: 1
; COMPUTE_PGM_RSRC2:TGID_Y_EN: 1
; COMPUTE_PGM_RSRC2:TGID_Z_EN: 0
; COMPUTE_PGM_RSRC2:TIDIG_COMP_CNT: 0
	.section	.text._ZN4vllm18copy_blocks_kernelIhEEvPlS1_PKli,"axG",@progbits,_ZN4vllm18copy_blocks_kernelIhEEvPlS1_PKli,comdat
	.protected	_ZN4vllm18copy_blocks_kernelIhEEvPlS1_PKli ; -- Begin function _ZN4vllm18copy_blocks_kernelIhEEvPlS1_PKli
	.globl	_ZN4vllm18copy_blocks_kernelIhEEvPlS1_PKli
	.p2align	8
	.type	_ZN4vllm18copy_blocks_kernelIhEEvPlS1_PKli,@function
_ZN4vllm18copy_blocks_kernelIhEEvPlS1_PKli: ; @_ZN4vllm18copy_blocks_kernelIhEEvPlS1_PKli
; %bb.0:
	s_load_b32 s2, s[0:1], 0x18
	s_mov_b32 s3, exec_lo
	s_wait_kmcnt 0x0
	v_cmpx_gt_i32_e64 s2, v0
	s_cbranch_execz .LBB3_5
; %bb.1:
	s_clause 0x1
	s_load_b64 s[10:11], s[0:1], 0x10
	s_load_b128 s[4:7], s[0:1], 0x0
	s_lshl_b32 s12, ttmp7, 1
	s_mov_b32 s8, ttmp9
	s_ashr_i32 s13, s12, 31
	s_ashr_i32 s9, ttmp9, 31
	s_load_b32 s16, s[0:1], 0x2c
	s_lshl_b64 s[0:1], s[12:13], 3
	s_lshl_b64 s[12:13], s[8:9], 3
	s_ashr_i32 s3, s2, 31
	v_mov_b32_e32 v1, v0
	s_wait_kmcnt 0x0
	s_add_nc_u64 s[0:1], s[10:11], s[0:1]
	s_add_nc_u64 s[4:5], s[4:5], s[12:13]
	s_load_b128 s[8:11], s[0:1], 0x0
	s_load_b64 s[14:15], s[4:5], 0x0
	s_add_nc_u64 s[0:1], s[6:7], s[12:13]
	s_load_b64 s[4:5], s[0:1], 0x0
	s_and_b32 s1, s16, 0xffff
	s_wait_kmcnt 0x0
	s_mul_u64 s[6:7], s[8:9], s[2:3]
	s_mul_u64 s[8:9], s[10:11], s[2:3]
	s_add_nc_u64 s[10:11], s[14:15], s[6:7]
	s_add_nc_u64 s[12:13], s[14:15], s[8:9]
	s_mov_b32 s3, 0
.LBB3_2:                                ; =>This Inner Loop Header: Depth=1
	v_ashrrev_i32_e32 v4, 31, v1
	v_add_co_u32 v2, vcc_lo, s10, v1
	s_wait_alu 0xfffd
	s_delay_alu instid0(VALU_DEP_2)
	v_add_co_ci_u32_e64 v3, null, s11, v4, vcc_lo
	flat_load_u8 v5, v[2:3]
	v_add_co_u32 v2, vcc_lo, s12, v1
	v_add_nc_u32_e32 v1, s1, v1
	s_wait_alu 0xfffd
	v_add_co_ci_u32_e64 v3, null, s13, v4, vcc_lo
	s_delay_alu instid0(VALU_DEP_2)
	v_cmp_le_i32_e64 s0, s2, v1
	s_wait_alu 0xfffe
	s_or_b32 s3, s0, s3
	s_wait_loadcnt_dscnt 0x0
	flat_store_b8 v[2:3], v5
	s_wait_alu 0xfffe
	s_and_not1_b32 exec_lo, exec_lo, s3
	s_cbranch_execnz .LBB3_2
; %bb.3:
	s_or_b32 exec_lo, exec_lo, s3
	s_add_nc_u64 s[6:7], s[4:5], s[6:7]
	s_add_nc_u64 s[4:5], s[4:5], s[8:9]
	s_mov_b32 s3, 0
.LBB3_4:                                ; =>This Inner Loop Header: Depth=1
	v_ashrrev_i32_e32 v3, 31, v0
	v_add_co_u32 v1, vcc_lo, s6, v0
	s_wait_alu 0xfffd
	s_delay_alu instid0(VALU_DEP_2)
	v_add_co_ci_u32_e64 v2, null, s7, v3, vcc_lo
	flat_load_u8 v4, v[1:2]
	v_add_co_u32 v1, vcc_lo, s4, v0
	v_add_nc_u32_e32 v0, s1, v0
	s_wait_alu 0xfffd
	v_add_co_ci_u32_e64 v2, null, s5, v3, vcc_lo
	s_delay_alu instid0(VALU_DEP_2)
	v_cmp_le_i32_e64 s0, s2, v0
	s_wait_alu 0xfffe
	s_or_b32 s3, s0, s3
	s_wait_loadcnt_dscnt 0x0
	flat_store_b8 v[1:2], v4
	s_wait_alu 0xfffe
	s_and_not1_b32 exec_lo, exec_lo, s3
	s_cbranch_execnz .LBB3_4
.LBB3_5:
	s_endpgm
	.section	.rodata,"a",@progbits
	.p2align	6, 0x0
	.amdhsa_kernel _ZN4vllm18copy_blocks_kernelIhEEvPlS1_PKli
		.amdhsa_group_segment_fixed_size 0
		.amdhsa_private_segment_fixed_size 0
		.amdhsa_kernarg_size 288
		.amdhsa_user_sgpr_count 2
		.amdhsa_user_sgpr_dispatch_ptr 0
		.amdhsa_user_sgpr_queue_ptr 0
		.amdhsa_user_sgpr_kernarg_segment_ptr 1
		.amdhsa_user_sgpr_dispatch_id 0
		.amdhsa_user_sgpr_private_segment_size 0
		.amdhsa_wavefront_size32 1
		.amdhsa_uses_dynamic_stack 0
		.amdhsa_enable_private_segment 0
		.amdhsa_system_sgpr_workgroup_id_x 1
		.amdhsa_system_sgpr_workgroup_id_y 1
		.amdhsa_system_sgpr_workgroup_id_z 0
		.amdhsa_system_sgpr_workgroup_info 0
		.amdhsa_system_vgpr_workitem_id 0
		.amdhsa_next_free_vgpr 6
		.amdhsa_next_free_sgpr 17
		.amdhsa_reserve_vcc 1
		.amdhsa_float_round_mode_32 0
		.amdhsa_float_round_mode_16_64 0
		.amdhsa_float_denorm_mode_32 3
		.amdhsa_float_denorm_mode_16_64 3
		.amdhsa_fp16_overflow 0
		.amdhsa_workgroup_processor_mode 1
		.amdhsa_memory_ordered 1
		.amdhsa_forward_progress 1
		.amdhsa_inst_pref_size 4
		.amdhsa_round_robin_scheduling 0
		.amdhsa_exception_fp_ieee_invalid_op 0
		.amdhsa_exception_fp_denorm_src 0
		.amdhsa_exception_fp_ieee_div_zero 0
		.amdhsa_exception_fp_ieee_overflow 0
		.amdhsa_exception_fp_ieee_underflow 0
		.amdhsa_exception_fp_ieee_inexact 0
		.amdhsa_exception_int_div_zero 0
	.end_amdhsa_kernel
	.section	.text._ZN4vllm18copy_blocks_kernelIhEEvPlS1_PKli,"axG",@progbits,_ZN4vllm18copy_blocks_kernelIhEEvPlS1_PKli,comdat
.Lfunc_end3:
	.size	_ZN4vllm18copy_blocks_kernelIhEEvPlS1_PKli, .Lfunc_end3-_ZN4vllm18copy_blocks_kernelIhEEvPlS1_PKli
                                        ; -- End function
	.set _ZN4vllm18copy_blocks_kernelIhEEvPlS1_PKli.num_vgpr, 6
	.set _ZN4vllm18copy_blocks_kernelIhEEvPlS1_PKli.num_agpr, 0
	.set _ZN4vllm18copy_blocks_kernelIhEEvPlS1_PKli.numbered_sgpr, 17
	.set _ZN4vllm18copy_blocks_kernelIhEEvPlS1_PKli.num_named_barrier, 0
	.set _ZN4vllm18copy_blocks_kernelIhEEvPlS1_PKli.private_seg_size, 0
	.set _ZN4vllm18copy_blocks_kernelIhEEvPlS1_PKli.uses_vcc, 1
	.set _ZN4vllm18copy_blocks_kernelIhEEvPlS1_PKli.uses_flat_scratch, 0
	.set _ZN4vllm18copy_blocks_kernelIhEEvPlS1_PKli.has_dyn_sized_stack, 0
	.set _ZN4vllm18copy_blocks_kernelIhEEvPlS1_PKli.has_recursion, 0
	.set _ZN4vllm18copy_blocks_kernelIhEEvPlS1_PKli.has_indirect_call, 0
	.section	.AMDGPU.csdata,"",@progbits
; Kernel info:
; codeLenInByte = 404
; TotalNumSgprs: 19
; NumVgprs: 6
; ScratchSize: 0
; MemoryBound: 0
; FloatMode: 240
; IeeeMode: 1
; LDSByteSize: 0 bytes/workgroup (compile time only)
; SGPRBlocks: 0
; VGPRBlocks: 0
; NumSGPRsForWavesPerEU: 19
; NumVGPRsForWavesPerEU: 6
; Occupancy: 16
; WaveLimiterHint : 1
; COMPUTE_PGM_RSRC2:SCRATCH_EN: 0
; COMPUTE_PGM_RSRC2:USER_SGPR: 2
; COMPUTE_PGM_RSRC2:TRAP_HANDLER: 0
; COMPUTE_PGM_RSRC2:TGID_X_EN: 1
; COMPUTE_PGM_RSRC2:TGID_Y_EN: 1
; COMPUTE_PGM_RSRC2:TGID_Z_EN: 0
; COMPUTE_PGM_RSRC2:TIDIG_COMP_CNT: 0
	.section	.text._ZN4vllm22copy_blocks_mla_kernelIfEEvPlPKli,"axG",@progbits,_ZN4vllm22copy_blocks_mla_kernelIfEEvPlPKli,comdat
	.protected	_ZN4vllm22copy_blocks_mla_kernelIfEEvPlPKli ; -- Begin function _ZN4vllm22copy_blocks_mla_kernelIfEEvPlPKli
	.globl	_ZN4vllm22copy_blocks_mla_kernelIfEEvPlPKli
	.p2align	8
	.type	_ZN4vllm22copy_blocks_mla_kernelIfEEvPlPKli,@function
_ZN4vllm22copy_blocks_mla_kernelIfEEvPlPKli: ; @_ZN4vllm22copy_blocks_mla_kernelIfEEvPlPKli
; %bb.0:
	s_load_b32 s2, s[0:1], 0x10
	s_mov_b32 s3, exec_lo
	s_wait_kmcnt 0x0
	v_cmpx_gt_i32_e64 s2, v0
	s_cbranch_execz .LBB4_3
; %bb.1:
	s_clause 0x1
	s_load_b128 s[4:7], s[0:1], 0x0
	s_load_b32 s12, s[0:1], 0x24
	s_lshl_b32 s10, ttmp7, 1
	s_mov_b32 s8, ttmp9
	s_ashr_i32 s11, s10, 31
	s_ashr_i32 s9, ttmp9, 31
	s_lshl_b64 s[10:11], s[10:11], 3
	s_mov_b32 s3, 0
	s_wait_kmcnt 0x0
	s_add_nc_u64 s[0:1], s[6:7], s[10:11]
	s_lshl_b64 s[6:7], s[8:9], 3
	s_load_b128 s[8:11], s[0:1], 0x0
	s_add_nc_u64 s[0:1], s[4:5], s[6:7]
	s_load_b64 s[0:1], s[0:1], 0x0
	s_wait_kmcnt 0x0
	s_mul_u64 s[4:5], s[8:9], s[2:3]
	s_mul_u64 s[6:7], s[10:11], s[2:3]
	s_lshl_b64 s[4:5], s[4:5], 2
	s_lshl_b64 s[6:7], s[6:7], 2
	s_add_nc_u64 s[4:5], s[0:1], s[4:5]
	s_add_nc_u64 s[6:7], s[0:1], s[6:7]
	s_and_b32 s1, s12, 0xffff
.LBB4_2:                                ; =>This Inner Loop Header: Depth=1
	v_ashrrev_i32_e32 v1, 31, v0
	s_delay_alu instid0(VALU_DEP_1) | instskip(SKIP_1) | instid1(VALU_DEP_2)
	v_lshlrev_b64_e32 v[1:2], 2, v[0:1]
	v_add_nc_u32_e32 v0, s1, v0
	v_add_co_u32 v3, vcc_lo, s4, v1
	s_wait_alu 0xfffd
	s_delay_alu instid0(VALU_DEP_3) | instskip(NEXT) | instid1(VALU_DEP_3)
	v_add_co_ci_u32_e64 v4, null, s5, v2, vcc_lo
	v_cmp_le_i32_e32 vcc_lo, s2, v0
	v_add_co_u32 v1, s0, s6, v1
	flat_load_b32 v3, v[3:4]
	s_wait_alu 0xf1ff
	v_add_co_ci_u32_e64 v2, null, s7, v2, s0
	s_or_b32 s3, vcc_lo, s3
	s_wait_loadcnt_dscnt 0x0
	flat_store_b32 v[1:2], v3
	s_wait_alu 0xfffe
	s_and_not1_b32 exec_lo, exec_lo, s3
	s_cbranch_execnz .LBB4_2
.LBB4_3:
	s_endpgm
	.section	.rodata,"a",@progbits
	.p2align	6, 0x0
	.amdhsa_kernel _ZN4vllm22copy_blocks_mla_kernelIfEEvPlPKli
		.amdhsa_group_segment_fixed_size 0
		.amdhsa_private_segment_fixed_size 0
		.amdhsa_kernarg_size 280
		.amdhsa_user_sgpr_count 2
		.amdhsa_user_sgpr_dispatch_ptr 0
		.amdhsa_user_sgpr_queue_ptr 0
		.amdhsa_user_sgpr_kernarg_segment_ptr 1
		.amdhsa_user_sgpr_dispatch_id 0
		.amdhsa_user_sgpr_private_segment_size 0
		.amdhsa_wavefront_size32 1
		.amdhsa_uses_dynamic_stack 0
		.amdhsa_enable_private_segment 0
		.amdhsa_system_sgpr_workgroup_id_x 1
		.amdhsa_system_sgpr_workgroup_id_y 1
		.amdhsa_system_sgpr_workgroup_id_z 0
		.amdhsa_system_sgpr_workgroup_info 0
		.amdhsa_system_vgpr_workitem_id 0
		.amdhsa_next_free_vgpr 5
		.amdhsa_next_free_sgpr 13
		.amdhsa_reserve_vcc 1
		.amdhsa_float_round_mode_32 0
		.amdhsa_float_round_mode_16_64 0
		.amdhsa_float_denorm_mode_32 3
		.amdhsa_float_denorm_mode_16_64 3
		.amdhsa_fp16_overflow 0
		.amdhsa_workgroup_processor_mode 1
		.amdhsa_memory_ordered 1
		.amdhsa_forward_progress 1
		.amdhsa_inst_pref_size 2
		.amdhsa_round_robin_scheduling 0
		.amdhsa_exception_fp_ieee_invalid_op 0
		.amdhsa_exception_fp_denorm_src 0
		.amdhsa_exception_fp_ieee_div_zero 0
		.amdhsa_exception_fp_ieee_overflow 0
		.amdhsa_exception_fp_ieee_underflow 0
		.amdhsa_exception_fp_ieee_inexact 0
		.amdhsa_exception_int_div_zero 0
	.end_amdhsa_kernel
	.section	.text._ZN4vllm22copy_blocks_mla_kernelIfEEvPlPKli,"axG",@progbits,_ZN4vllm22copy_blocks_mla_kernelIfEEvPlPKli,comdat
.Lfunc_end4:
	.size	_ZN4vllm22copy_blocks_mla_kernelIfEEvPlPKli, .Lfunc_end4-_ZN4vllm22copy_blocks_mla_kernelIfEEvPlPKli
                                        ; -- End function
	.set _ZN4vllm22copy_blocks_mla_kernelIfEEvPlPKli.num_vgpr, 5
	.set _ZN4vllm22copy_blocks_mla_kernelIfEEvPlPKli.num_agpr, 0
	.set _ZN4vllm22copy_blocks_mla_kernelIfEEvPlPKli.numbered_sgpr, 13
	.set _ZN4vllm22copy_blocks_mla_kernelIfEEvPlPKli.num_named_barrier, 0
	.set _ZN4vllm22copy_blocks_mla_kernelIfEEvPlPKli.private_seg_size, 0
	.set _ZN4vllm22copy_blocks_mla_kernelIfEEvPlPKli.uses_vcc, 1
	.set _ZN4vllm22copy_blocks_mla_kernelIfEEvPlPKli.uses_flat_scratch, 0
	.set _ZN4vllm22copy_blocks_mla_kernelIfEEvPlPKli.has_dyn_sized_stack, 0
	.set _ZN4vllm22copy_blocks_mla_kernelIfEEvPlPKli.has_recursion, 0
	.set _ZN4vllm22copy_blocks_mla_kernelIfEEvPlPKli.has_indirect_call, 0
	.section	.AMDGPU.csdata,"",@progbits
; Kernel info:
; codeLenInByte = 252
; TotalNumSgprs: 15
; NumVgprs: 5
; ScratchSize: 0
; MemoryBound: 0
; FloatMode: 240
; IeeeMode: 1
; LDSByteSize: 0 bytes/workgroup (compile time only)
; SGPRBlocks: 0
; VGPRBlocks: 0
; NumSGPRsForWavesPerEU: 15
; NumVGPRsForWavesPerEU: 5
; Occupancy: 16
; WaveLimiterHint : 1
; COMPUTE_PGM_RSRC2:SCRATCH_EN: 0
; COMPUTE_PGM_RSRC2:USER_SGPR: 2
; COMPUTE_PGM_RSRC2:TRAP_HANDLER: 0
; COMPUTE_PGM_RSRC2:TGID_X_EN: 1
; COMPUTE_PGM_RSRC2:TGID_Y_EN: 1
; COMPUTE_PGM_RSRC2:TGID_Z_EN: 0
; COMPUTE_PGM_RSRC2:TIDIG_COMP_CNT: 0
	.section	.text._ZN4vllm22copy_blocks_mla_kernelIN3c104HalfEEEvPlPKli,"axG",@progbits,_ZN4vllm22copy_blocks_mla_kernelIN3c104HalfEEEvPlPKli,comdat
	.protected	_ZN4vllm22copy_blocks_mla_kernelIN3c104HalfEEEvPlPKli ; -- Begin function _ZN4vllm22copy_blocks_mla_kernelIN3c104HalfEEEvPlPKli
	.globl	_ZN4vllm22copy_blocks_mla_kernelIN3c104HalfEEEvPlPKli
	.p2align	8
	.type	_ZN4vllm22copy_blocks_mla_kernelIN3c104HalfEEEvPlPKli,@function
_ZN4vllm22copy_blocks_mla_kernelIN3c104HalfEEEvPlPKli: ; @_ZN4vllm22copy_blocks_mla_kernelIN3c104HalfEEEvPlPKli
; %bb.0:
	s_load_b32 s2, s[0:1], 0x10
	s_mov_b32 s3, exec_lo
	s_wait_kmcnt 0x0
	v_cmpx_gt_i32_e64 s2, v0
	s_cbranch_execz .LBB5_3
; %bb.1:
	s_clause 0x1
	s_load_b128 s[4:7], s[0:1], 0x0
	s_load_b32 s12, s[0:1], 0x24
	s_lshl_b32 s10, ttmp7, 1
	s_mov_b32 s8, ttmp9
	s_ashr_i32 s11, s10, 31
	s_ashr_i32 s9, ttmp9, 31
	s_lshl_b64 s[10:11], s[10:11], 3
	s_mov_b32 s3, 0
	s_wait_kmcnt 0x0
	s_add_nc_u64 s[0:1], s[6:7], s[10:11]
	s_lshl_b64 s[6:7], s[8:9], 3
	s_load_b128 s[8:11], s[0:1], 0x0
	s_add_nc_u64 s[0:1], s[4:5], s[6:7]
	s_load_b64 s[0:1], s[0:1], 0x0
	s_wait_kmcnt 0x0
	s_mul_u64 s[4:5], s[8:9], s[2:3]
	s_mul_u64 s[6:7], s[10:11], s[2:3]
	s_lshl_b64 s[4:5], s[4:5], 1
	s_lshl_b64 s[6:7], s[6:7], 1
	s_add_nc_u64 s[4:5], s[0:1], s[4:5]
	s_add_nc_u64 s[6:7], s[0:1], s[6:7]
	s_and_b32 s1, s12, 0xffff
.LBB5_2:                                ; =>This Inner Loop Header: Depth=1
	v_ashrrev_i32_e32 v1, 31, v0
	s_delay_alu instid0(VALU_DEP_1) | instskip(SKIP_1) | instid1(VALU_DEP_2)
	v_lshlrev_b64_e32 v[1:2], 1, v[0:1]
	v_add_nc_u32_e32 v0, s1, v0
	v_add_co_u32 v3, vcc_lo, s4, v1
	s_wait_alu 0xfffd
	s_delay_alu instid0(VALU_DEP_3) | instskip(NEXT) | instid1(VALU_DEP_3)
	v_add_co_ci_u32_e64 v4, null, s5, v2, vcc_lo
	v_cmp_le_i32_e32 vcc_lo, s2, v0
	v_add_co_u32 v1, s0, s6, v1
	flat_load_u16 v3, v[3:4]
	s_wait_alu 0xf1ff
	v_add_co_ci_u32_e64 v2, null, s7, v2, s0
	s_or_b32 s3, vcc_lo, s3
	s_wait_loadcnt_dscnt 0x0
	flat_store_b16 v[1:2], v3
	s_wait_alu 0xfffe
	s_and_not1_b32 exec_lo, exec_lo, s3
	s_cbranch_execnz .LBB5_2
.LBB5_3:
	s_endpgm
	.section	.rodata,"a",@progbits
	.p2align	6, 0x0
	.amdhsa_kernel _ZN4vllm22copy_blocks_mla_kernelIN3c104HalfEEEvPlPKli
		.amdhsa_group_segment_fixed_size 0
		.amdhsa_private_segment_fixed_size 0
		.amdhsa_kernarg_size 280
		.amdhsa_user_sgpr_count 2
		.amdhsa_user_sgpr_dispatch_ptr 0
		.amdhsa_user_sgpr_queue_ptr 0
		.amdhsa_user_sgpr_kernarg_segment_ptr 1
		.amdhsa_user_sgpr_dispatch_id 0
		.amdhsa_user_sgpr_private_segment_size 0
		.amdhsa_wavefront_size32 1
		.amdhsa_uses_dynamic_stack 0
		.amdhsa_enable_private_segment 0
		.amdhsa_system_sgpr_workgroup_id_x 1
		.amdhsa_system_sgpr_workgroup_id_y 1
		.amdhsa_system_sgpr_workgroup_id_z 0
		.amdhsa_system_sgpr_workgroup_info 0
		.amdhsa_system_vgpr_workitem_id 0
		.amdhsa_next_free_vgpr 5
		.amdhsa_next_free_sgpr 13
		.amdhsa_reserve_vcc 1
		.amdhsa_float_round_mode_32 0
		.amdhsa_float_round_mode_16_64 0
		.amdhsa_float_denorm_mode_32 3
		.amdhsa_float_denorm_mode_16_64 3
		.amdhsa_fp16_overflow 0
		.amdhsa_workgroup_processor_mode 1
		.amdhsa_memory_ordered 1
		.amdhsa_forward_progress 1
		.amdhsa_inst_pref_size 2
		.amdhsa_round_robin_scheduling 0
		.amdhsa_exception_fp_ieee_invalid_op 0
		.amdhsa_exception_fp_denorm_src 0
		.amdhsa_exception_fp_ieee_div_zero 0
		.amdhsa_exception_fp_ieee_overflow 0
		.amdhsa_exception_fp_ieee_underflow 0
		.amdhsa_exception_fp_ieee_inexact 0
		.amdhsa_exception_int_div_zero 0
	.end_amdhsa_kernel
	.section	.text._ZN4vllm22copy_blocks_mla_kernelIN3c104HalfEEEvPlPKli,"axG",@progbits,_ZN4vllm22copy_blocks_mla_kernelIN3c104HalfEEEvPlPKli,comdat
.Lfunc_end5:
	.size	_ZN4vllm22copy_blocks_mla_kernelIN3c104HalfEEEvPlPKli, .Lfunc_end5-_ZN4vllm22copy_blocks_mla_kernelIN3c104HalfEEEvPlPKli
                                        ; -- End function
	.set _ZN4vllm22copy_blocks_mla_kernelIN3c104HalfEEEvPlPKli.num_vgpr, 5
	.set _ZN4vllm22copy_blocks_mla_kernelIN3c104HalfEEEvPlPKli.num_agpr, 0
	.set _ZN4vllm22copy_blocks_mla_kernelIN3c104HalfEEEvPlPKli.numbered_sgpr, 13
	.set _ZN4vllm22copy_blocks_mla_kernelIN3c104HalfEEEvPlPKli.num_named_barrier, 0
	.set _ZN4vllm22copy_blocks_mla_kernelIN3c104HalfEEEvPlPKli.private_seg_size, 0
	.set _ZN4vllm22copy_blocks_mla_kernelIN3c104HalfEEEvPlPKli.uses_vcc, 1
	.set _ZN4vllm22copy_blocks_mla_kernelIN3c104HalfEEEvPlPKli.uses_flat_scratch, 0
	.set _ZN4vllm22copy_blocks_mla_kernelIN3c104HalfEEEvPlPKli.has_dyn_sized_stack, 0
	.set _ZN4vllm22copy_blocks_mla_kernelIN3c104HalfEEEvPlPKli.has_recursion, 0
	.set _ZN4vllm22copy_blocks_mla_kernelIN3c104HalfEEEvPlPKli.has_indirect_call, 0
	.section	.AMDGPU.csdata,"",@progbits
; Kernel info:
; codeLenInByte = 252
; TotalNumSgprs: 15
; NumVgprs: 5
; ScratchSize: 0
; MemoryBound: 0
; FloatMode: 240
; IeeeMode: 1
; LDSByteSize: 0 bytes/workgroup (compile time only)
; SGPRBlocks: 0
; VGPRBlocks: 0
; NumSGPRsForWavesPerEU: 15
; NumVGPRsForWavesPerEU: 5
; Occupancy: 16
; WaveLimiterHint : 1
; COMPUTE_PGM_RSRC2:SCRATCH_EN: 0
; COMPUTE_PGM_RSRC2:USER_SGPR: 2
; COMPUTE_PGM_RSRC2:TRAP_HANDLER: 0
; COMPUTE_PGM_RSRC2:TGID_X_EN: 1
; COMPUTE_PGM_RSRC2:TGID_Y_EN: 1
; COMPUTE_PGM_RSRC2:TGID_Z_EN: 0
; COMPUTE_PGM_RSRC2:TIDIG_COMP_CNT: 0
	.section	.text._ZN4vllm22copy_blocks_mla_kernelIN3c108BFloat16EEEvPlPKli,"axG",@progbits,_ZN4vllm22copy_blocks_mla_kernelIN3c108BFloat16EEEvPlPKli,comdat
	.protected	_ZN4vllm22copy_blocks_mla_kernelIN3c108BFloat16EEEvPlPKli ; -- Begin function _ZN4vllm22copy_blocks_mla_kernelIN3c108BFloat16EEEvPlPKli
	.globl	_ZN4vllm22copy_blocks_mla_kernelIN3c108BFloat16EEEvPlPKli
	.p2align	8
	.type	_ZN4vllm22copy_blocks_mla_kernelIN3c108BFloat16EEEvPlPKli,@function
_ZN4vllm22copy_blocks_mla_kernelIN3c108BFloat16EEEvPlPKli: ; @_ZN4vllm22copy_blocks_mla_kernelIN3c108BFloat16EEEvPlPKli
; %bb.0:
	s_load_b32 s2, s[0:1], 0x10
	s_mov_b32 s3, exec_lo
	s_wait_kmcnt 0x0
	v_cmpx_gt_i32_e64 s2, v0
	s_cbranch_execz .LBB6_3
; %bb.1:
	s_clause 0x1
	s_load_b128 s[4:7], s[0:1], 0x0
	s_load_b32 s12, s[0:1], 0x24
	s_lshl_b32 s10, ttmp7, 1
	s_mov_b32 s8, ttmp9
	s_ashr_i32 s11, s10, 31
	s_ashr_i32 s9, ttmp9, 31
	s_lshl_b64 s[10:11], s[10:11], 3
	s_mov_b32 s3, 0
	s_wait_kmcnt 0x0
	s_add_nc_u64 s[0:1], s[6:7], s[10:11]
	s_lshl_b64 s[6:7], s[8:9], 3
	s_load_b128 s[8:11], s[0:1], 0x0
	s_add_nc_u64 s[0:1], s[4:5], s[6:7]
	s_load_b64 s[0:1], s[0:1], 0x0
	s_wait_kmcnt 0x0
	s_mul_u64 s[4:5], s[8:9], s[2:3]
	s_mul_u64 s[6:7], s[10:11], s[2:3]
	s_lshl_b64 s[4:5], s[4:5], 1
	s_lshl_b64 s[6:7], s[6:7], 1
	s_add_nc_u64 s[4:5], s[0:1], s[4:5]
	s_add_nc_u64 s[6:7], s[0:1], s[6:7]
	s_and_b32 s1, s12, 0xffff
.LBB6_2:                                ; =>This Inner Loop Header: Depth=1
	v_ashrrev_i32_e32 v1, 31, v0
	s_delay_alu instid0(VALU_DEP_1) | instskip(SKIP_1) | instid1(VALU_DEP_2)
	v_lshlrev_b64_e32 v[1:2], 1, v[0:1]
	v_add_nc_u32_e32 v0, s1, v0
	v_add_co_u32 v3, vcc_lo, s4, v1
	s_wait_alu 0xfffd
	s_delay_alu instid0(VALU_DEP_3) | instskip(NEXT) | instid1(VALU_DEP_3)
	v_add_co_ci_u32_e64 v4, null, s5, v2, vcc_lo
	v_cmp_le_i32_e32 vcc_lo, s2, v0
	v_add_co_u32 v1, s0, s6, v1
	flat_load_u16 v3, v[3:4]
	s_wait_alu 0xf1ff
	v_add_co_ci_u32_e64 v2, null, s7, v2, s0
	s_or_b32 s3, vcc_lo, s3
	s_wait_loadcnt_dscnt 0x0
	flat_store_b16 v[1:2], v3
	s_wait_alu 0xfffe
	s_and_not1_b32 exec_lo, exec_lo, s3
	s_cbranch_execnz .LBB6_2
.LBB6_3:
	s_endpgm
	.section	.rodata,"a",@progbits
	.p2align	6, 0x0
	.amdhsa_kernel _ZN4vllm22copy_blocks_mla_kernelIN3c108BFloat16EEEvPlPKli
		.amdhsa_group_segment_fixed_size 0
		.amdhsa_private_segment_fixed_size 0
		.amdhsa_kernarg_size 280
		.amdhsa_user_sgpr_count 2
		.amdhsa_user_sgpr_dispatch_ptr 0
		.amdhsa_user_sgpr_queue_ptr 0
		.amdhsa_user_sgpr_kernarg_segment_ptr 1
		.amdhsa_user_sgpr_dispatch_id 0
		.amdhsa_user_sgpr_private_segment_size 0
		.amdhsa_wavefront_size32 1
		.amdhsa_uses_dynamic_stack 0
		.amdhsa_enable_private_segment 0
		.amdhsa_system_sgpr_workgroup_id_x 1
		.amdhsa_system_sgpr_workgroup_id_y 1
		.amdhsa_system_sgpr_workgroup_id_z 0
		.amdhsa_system_sgpr_workgroup_info 0
		.amdhsa_system_vgpr_workitem_id 0
		.amdhsa_next_free_vgpr 5
		.amdhsa_next_free_sgpr 13
		.amdhsa_reserve_vcc 1
		.amdhsa_float_round_mode_32 0
		.amdhsa_float_round_mode_16_64 0
		.amdhsa_float_denorm_mode_32 3
		.amdhsa_float_denorm_mode_16_64 3
		.amdhsa_fp16_overflow 0
		.amdhsa_workgroup_processor_mode 1
		.amdhsa_memory_ordered 1
		.amdhsa_forward_progress 1
		.amdhsa_inst_pref_size 2
		.amdhsa_round_robin_scheduling 0
		.amdhsa_exception_fp_ieee_invalid_op 0
		.amdhsa_exception_fp_denorm_src 0
		.amdhsa_exception_fp_ieee_div_zero 0
		.amdhsa_exception_fp_ieee_overflow 0
		.amdhsa_exception_fp_ieee_underflow 0
		.amdhsa_exception_fp_ieee_inexact 0
		.amdhsa_exception_int_div_zero 0
	.end_amdhsa_kernel
	.section	.text._ZN4vllm22copy_blocks_mla_kernelIN3c108BFloat16EEEvPlPKli,"axG",@progbits,_ZN4vllm22copy_blocks_mla_kernelIN3c108BFloat16EEEvPlPKli,comdat
.Lfunc_end6:
	.size	_ZN4vllm22copy_blocks_mla_kernelIN3c108BFloat16EEEvPlPKli, .Lfunc_end6-_ZN4vllm22copy_blocks_mla_kernelIN3c108BFloat16EEEvPlPKli
                                        ; -- End function
	.set _ZN4vllm22copy_blocks_mla_kernelIN3c108BFloat16EEEvPlPKli.num_vgpr, 5
	.set _ZN4vllm22copy_blocks_mla_kernelIN3c108BFloat16EEEvPlPKli.num_agpr, 0
	.set _ZN4vllm22copy_blocks_mla_kernelIN3c108BFloat16EEEvPlPKli.numbered_sgpr, 13
	.set _ZN4vllm22copy_blocks_mla_kernelIN3c108BFloat16EEEvPlPKli.num_named_barrier, 0
	.set _ZN4vllm22copy_blocks_mla_kernelIN3c108BFloat16EEEvPlPKli.private_seg_size, 0
	.set _ZN4vllm22copy_blocks_mla_kernelIN3c108BFloat16EEEvPlPKli.uses_vcc, 1
	.set _ZN4vllm22copy_blocks_mla_kernelIN3c108BFloat16EEEvPlPKli.uses_flat_scratch, 0
	.set _ZN4vllm22copy_blocks_mla_kernelIN3c108BFloat16EEEvPlPKli.has_dyn_sized_stack, 0
	.set _ZN4vllm22copy_blocks_mla_kernelIN3c108BFloat16EEEvPlPKli.has_recursion, 0
	.set _ZN4vllm22copy_blocks_mla_kernelIN3c108BFloat16EEEvPlPKli.has_indirect_call, 0
	.section	.AMDGPU.csdata,"",@progbits
; Kernel info:
; codeLenInByte = 252
; TotalNumSgprs: 15
; NumVgprs: 5
; ScratchSize: 0
; MemoryBound: 0
; FloatMode: 240
; IeeeMode: 1
; LDSByteSize: 0 bytes/workgroup (compile time only)
; SGPRBlocks: 0
; VGPRBlocks: 0
; NumSGPRsForWavesPerEU: 15
; NumVGPRsForWavesPerEU: 5
; Occupancy: 16
; WaveLimiterHint : 1
; COMPUTE_PGM_RSRC2:SCRATCH_EN: 0
; COMPUTE_PGM_RSRC2:USER_SGPR: 2
; COMPUTE_PGM_RSRC2:TRAP_HANDLER: 0
; COMPUTE_PGM_RSRC2:TGID_X_EN: 1
; COMPUTE_PGM_RSRC2:TGID_Y_EN: 1
; COMPUTE_PGM_RSRC2:TGID_Z_EN: 0
; COMPUTE_PGM_RSRC2:TIDIG_COMP_CNT: 0
	.section	.text._ZN4vllm22copy_blocks_mla_kernelIhEEvPlPKli,"axG",@progbits,_ZN4vllm22copy_blocks_mla_kernelIhEEvPlPKli,comdat
	.protected	_ZN4vllm22copy_blocks_mla_kernelIhEEvPlPKli ; -- Begin function _ZN4vllm22copy_blocks_mla_kernelIhEEvPlPKli
	.globl	_ZN4vllm22copy_blocks_mla_kernelIhEEvPlPKli
	.p2align	8
	.type	_ZN4vllm22copy_blocks_mla_kernelIhEEvPlPKli,@function
_ZN4vllm22copy_blocks_mla_kernelIhEEvPlPKli: ; @_ZN4vllm22copy_blocks_mla_kernelIhEEvPlPKli
; %bb.0:
	s_load_b32 s2, s[0:1], 0x10
	s_mov_b32 s3, exec_lo
	s_wait_kmcnt 0x0
	v_cmpx_gt_i32_e64 s2, v0
	s_cbranch_execz .LBB7_3
; %bb.1:
	s_clause 0x1
	s_load_b128 s[4:7], s[0:1], 0x0
	s_load_b32 s12, s[0:1], 0x24
	s_lshl_b32 s10, ttmp7, 1
	s_mov_b32 s8, ttmp9
	s_ashr_i32 s11, s10, 31
	s_ashr_i32 s9, ttmp9, 31
	s_lshl_b64 s[0:1], s[10:11], 3
	s_lshl_b64 s[8:9], s[8:9], 3
	s_mov_b32 s3, 0
	s_wait_kmcnt 0x0
	s_add_nc_u64 s[0:1], s[6:7], s[0:1]
	s_add_nc_u64 s[8:9], s[4:5], s[8:9]
	s_load_b128 s[4:7], s[0:1], 0x0
	s_load_b64 s[0:1], s[8:9], 0x0
	s_wait_kmcnt 0x0
	s_mul_u64 s[4:5], s[4:5], s[2:3]
	s_mul_u64 s[6:7], s[6:7], s[2:3]
	s_add_nc_u64 s[4:5], s[0:1], s[4:5]
	s_add_nc_u64 s[6:7], s[0:1], s[6:7]
	s_and_b32 s1, s12, 0xffff
.LBB7_2:                                ; =>This Inner Loop Header: Depth=1
	v_ashrrev_i32_e32 v3, 31, v0
	v_add_co_u32 v1, vcc_lo, s4, v0
	s_wait_alu 0xfffd
	s_delay_alu instid0(VALU_DEP_2)
	v_add_co_ci_u32_e64 v2, null, s5, v3, vcc_lo
	flat_load_u8 v4, v[1:2]
	v_add_co_u32 v1, vcc_lo, s6, v0
	v_add_nc_u32_e32 v0, s1, v0
	s_wait_alu 0xfffd
	v_add_co_ci_u32_e64 v2, null, s7, v3, vcc_lo
	s_delay_alu instid0(VALU_DEP_2)
	v_cmp_le_i32_e64 s0, s2, v0
	s_or_b32 s3, s0, s3
	s_wait_loadcnt_dscnt 0x0
	flat_store_b8 v[1:2], v4
	s_wait_alu 0xfffe
	s_and_not1_b32 exec_lo, exec_lo, s3
	s_cbranch_execnz .LBB7_2
.LBB7_3:
	s_endpgm
	.section	.rodata,"a",@progbits
	.p2align	6, 0x0
	.amdhsa_kernel _ZN4vllm22copy_blocks_mla_kernelIhEEvPlPKli
		.amdhsa_group_segment_fixed_size 0
		.amdhsa_private_segment_fixed_size 0
		.amdhsa_kernarg_size 280
		.amdhsa_user_sgpr_count 2
		.amdhsa_user_sgpr_dispatch_ptr 0
		.amdhsa_user_sgpr_queue_ptr 0
		.amdhsa_user_sgpr_kernarg_segment_ptr 1
		.amdhsa_user_sgpr_dispatch_id 0
		.amdhsa_user_sgpr_private_segment_size 0
		.amdhsa_wavefront_size32 1
		.amdhsa_uses_dynamic_stack 0
		.amdhsa_enable_private_segment 0
		.amdhsa_system_sgpr_workgroup_id_x 1
		.amdhsa_system_sgpr_workgroup_id_y 1
		.amdhsa_system_sgpr_workgroup_id_z 0
		.amdhsa_system_sgpr_workgroup_info 0
		.amdhsa_system_vgpr_workitem_id 0
		.amdhsa_next_free_vgpr 5
		.amdhsa_next_free_sgpr 13
		.amdhsa_reserve_vcc 1
		.amdhsa_float_round_mode_32 0
		.amdhsa_float_round_mode_16_64 0
		.amdhsa_float_denorm_mode_32 3
		.amdhsa_float_denorm_mode_16_64 3
		.amdhsa_fp16_overflow 0
		.amdhsa_workgroup_processor_mode 1
		.amdhsa_memory_ordered 1
		.amdhsa_forward_progress 1
		.amdhsa_inst_pref_size 2
		.amdhsa_round_robin_scheduling 0
		.amdhsa_exception_fp_ieee_invalid_op 0
		.amdhsa_exception_fp_denorm_src 0
		.amdhsa_exception_fp_ieee_div_zero 0
		.amdhsa_exception_fp_ieee_overflow 0
		.amdhsa_exception_fp_ieee_underflow 0
		.amdhsa_exception_fp_ieee_inexact 0
		.amdhsa_exception_int_div_zero 0
	.end_amdhsa_kernel
	.section	.text._ZN4vllm22copy_blocks_mla_kernelIhEEvPlPKli,"axG",@progbits,_ZN4vllm22copy_blocks_mla_kernelIhEEvPlPKli,comdat
.Lfunc_end7:
	.size	_ZN4vllm22copy_blocks_mla_kernelIhEEvPlPKli, .Lfunc_end7-_ZN4vllm22copy_blocks_mla_kernelIhEEvPlPKli
                                        ; -- End function
	.set _ZN4vllm22copy_blocks_mla_kernelIhEEvPlPKli.num_vgpr, 5
	.set _ZN4vllm22copy_blocks_mla_kernelIhEEvPlPKli.num_agpr, 0
	.set _ZN4vllm22copy_blocks_mla_kernelIhEEvPlPKli.numbered_sgpr, 13
	.set _ZN4vllm22copy_blocks_mla_kernelIhEEvPlPKli.num_named_barrier, 0
	.set _ZN4vllm22copy_blocks_mla_kernelIhEEvPlPKli.private_seg_size, 0
	.set _ZN4vllm22copy_blocks_mla_kernelIhEEvPlPKli.uses_vcc, 1
	.set _ZN4vllm22copy_blocks_mla_kernelIhEEvPlPKli.uses_flat_scratch, 0
	.set _ZN4vllm22copy_blocks_mla_kernelIhEEvPlPKli.has_dyn_sized_stack, 0
	.set _ZN4vllm22copy_blocks_mla_kernelIhEEvPlPKli.has_recursion, 0
	.set _ZN4vllm22copy_blocks_mla_kernelIhEEvPlPKli.has_indirect_call, 0
	.section	.AMDGPU.csdata,"",@progbits
; Kernel info:
; codeLenInByte = 244
; TotalNumSgprs: 15
; NumVgprs: 5
; ScratchSize: 0
; MemoryBound: 0
; FloatMode: 240
; IeeeMode: 1
; LDSByteSize: 0 bytes/workgroup (compile time only)
; SGPRBlocks: 0
; VGPRBlocks: 0
; NumSGPRsForWavesPerEU: 15
; NumVGPRsForWavesPerEU: 5
; Occupancy: 16
; WaveLimiterHint : 1
; COMPUTE_PGM_RSRC2:SCRATCH_EN: 0
; COMPUTE_PGM_RSRC2:USER_SGPR: 2
; COMPUTE_PGM_RSRC2:TRAP_HANDLER: 0
; COMPUTE_PGM_RSRC2:TGID_X_EN: 1
; COMPUTE_PGM_RSRC2:TGID_Y_EN: 1
; COMPUTE_PGM_RSRC2:TGID_Z_EN: 0
; COMPUTE_PGM_RSRC2:TIDIG_COMP_CNT: 0
	.section	.text._ZN4vllm24reshape_and_cache_kernelIffLNS_18Fp8KVCacheDataTypeE0EEEvPKT_S4_PT0_S6_PKliiiiiiPKfSA_,"axG",@progbits,_ZN4vllm24reshape_and_cache_kernelIffLNS_18Fp8KVCacheDataTypeE0EEEvPKT_S4_PT0_S6_PKliiiiiiPKfSA_,comdat
	.protected	_ZN4vllm24reshape_and_cache_kernelIffLNS_18Fp8KVCacheDataTypeE0EEEvPKT_S4_PT0_S6_PKliiiiiiPKfSA_ ; -- Begin function _ZN4vllm24reshape_and_cache_kernelIffLNS_18Fp8KVCacheDataTypeE0EEEvPKT_S4_PT0_S6_PKliiiiiiPKfSA_
	.globl	_ZN4vllm24reshape_and_cache_kernelIffLNS_18Fp8KVCacheDataTypeE0EEEvPKT_S4_PT0_S6_PKliiiiiiPKfSA_
	.p2align	8
	.type	_ZN4vllm24reshape_and_cache_kernelIffLNS_18Fp8KVCacheDataTypeE0EEEvPKT_S4_PT0_S6_PKliiiiiiPKfSA_,@function
_ZN4vllm24reshape_and_cache_kernelIffLNS_18Fp8KVCacheDataTypeE0EEEvPKT_S4_PT0_S6_PKliiiiiiPKfSA_: ; @_ZN4vllm24reshape_and_cache_kernelIffLNS_18Fp8KVCacheDataTypeE0EEEvPKT_S4_PT0_S6_PKliiiiiiPKfSA_
; %bb.0:
	s_load_b64 s[2:3], s[0:1], 0x20
	s_mov_b32 s16, ttmp9
	s_mov_b32 s17, 0
	s_delay_alu instid0(SALU_CYCLE_1)
	s_lshl_b64 s[4:5], s[16:17], 3
	s_wait_kmcnt 0x0
	s_add_nc_u64 s[2:3], s[2:3], s[4:5]
	s_load_b64 s[18:19], s[2:3], 0x0
	s_wait_kmcnt 0x0
	v_cmp_lt_i64_e64 s2, s[18:19], 0
	s_and_b32 vcc_lo, exec_lo, s2
	s_cbranch_vccnz .LBB8_7
; %bb.1:
	s_clause 0x1
	s_load_b64 s[2:3], s[0:1], 0x38
	s_load_b128 s[12:15], s[0:1], 0x28
	s_wait_kmcnt 0x0
	s_ashr_i32 s21, s2, 31
	s_mov_b32 s20, s2
	s_delay_alu instid0(SALU_CYCLE_1) | instskip(SKIP_1) | instid1(SALU_CYCLE_1)
	s_or_b64 s[4:5], s[18:19], s[20:21]
	s_mov_b32 s4, s17
	s_cmp_lg_u64 s[4:5], 0
	s_cbranch_scc0 .LBB8_8
; %bb.2:
	s_ashr_i32 s4, s21, 31
	s_delay_alu instid0(SALU_CYCLE_1) | instskip(NEXT) | instid1(SALU_CYCLE_1)
	s_mov_b32 s5, s4
	s_add_nc_u64 s[6:7], s[20:21], s[4:5]
	s_delay_alu instid0(SALU_CYCLE_1) | instskip(NEXT) | instid1(SALU_CYCLE_1)
	s_xor_b64 s[6:7], s[6:7], s[4:5]
	s_cvt_f32_u32 s8, s6
	s_cvt_f32_u32 s9, s7
	s_sub_nc_u64 s[22:23], 0, s[6:7]
	s_delay_alu instid0(SALU_CYCLE_2) | instskip(NEXT) | instid1(SALU_CYCLE_3)
	s_fmamk_f32 s8, s9, 0x4f800000, s8
	v_s_rcp_f32 s8, s8
	s_delay_alu instid0(TRANS32_DEP_1) | instskip(SKIP_1) | instid1(SALU_CYCLE_2)
	s_mul_f32 s8, s8, 0x5f7ffffc
	s_wait_alu 0xfffe
	s_mul_f32 s9, s8, 0x2f800000
	s_wait_alu 0xfffe
	s_delay_alu instid0(SALU_CYCLE_2) | instskip(SKIP_1) | instid1(SALU_CYCLE_2)
	s_trunc_f32 s9, s9
	s_wait_alu 0xfffe
	s_fmamk_f32 s8, s9, 0xcf800000, s8
	s_cvt_u32_f32 s11, s9
	s_mov_b32 s9, 0
	s_wait_alu 0xfffe
	s_cvt_u32_f32 s10, s8
	s_delay_alu instid0(SALU_CYCLE_3) | instskip(NEXT) | instid1(SALU_CYCLE_1)
	s_mul_u64 s[24:25], s[22:23], s[10:11]
	s_mul_hi_u32 s27, s10, s25
	s_mul_i32 s26, s10, s25
	s_mul_hi_u32 s8, s10, s24
	s_mul_i32 s29, s11, s24
	s_wait_alu 0xfffe
	s_add_nc_u64 s[26:27], s[8:9], s[26:27]
	s_mul_hi_u32 s28, s11, s24
	s_mul_hi_u32 s30, s11, s25
	s_add_co_u32 s8, s26, s29
	s_add_co_ci_u32 s8, s27, s28
	s_mul_i32 s24, s11, s25
	s_add_co_ci_u32 s25, s30, 0
	s_wait_alu 0xfffe
	s_add_nc_u64 s[24:25], s[8:9], s[24:25]
	s_delay_alu instid0(SALU_CYCLE_1) | instskip(SKIP_4) | instid1(SALU_CYCLE_1)
	s_add_co_u32 s10, s10, s24
	s_cselect_b32 s8, -1, 0
	s_wait_alu 0xfffe
	s_cmp_lg_u32 s8, 0
	s_add_co_ci_u32 s11, s11, s25
	s_mul_u64 s[22:23], s[22:23], s[10:11]
	s_delay_alu instid0(SALU_CYCLE_1)
	s_mul_hi_u32 s25, s10, s23
	s_mul_i32 s24, s10, s23
	s_mul_hi_u32 s8, s10, s22
	s_mul_i32 s27, s11, s22
	s_wait_alu 0xfffe
	s_add_nc_u64 s[24:25], s[8:9], s[24:25]
	s_mul_hi_u32 s26, s11, s22
	s_mul_hi_u32 s28, s11, s23
	s_add_co_u32 s8, s24, s27
	s_add_co_ci_u32 s8, s25, s26
	s_mul_i32 s22, s11, s23
	s_add_co_ci_u32 s23, s28, 0
	s_wait_alu 0xfffe
	s_add_nc_u64 s[22:23], s[8:9], s[22:23]
	s_delay_alu instid0(SALU_CYCLE_1)
	s_add_co_u32 s26, s10, s22
	s_cselect_b32 s8, -1, 0
	s_wait_alu 0xfffe
	s_cmp_lg_u32 s8, 0
	s_add_co_ci_u32 s27, s11, s23
	s_ashr_i32 s10, s19, 31
	s_delay_alu instid0(SALU_CYCLE_1) | instskip(NEXT) | instid1(SALU_CYCLE_1)
	s_mov_b32 s11, s10
	s_add_nc_u64 s[22:23], s[18:19], s[10:11]
	s_delay_alu instid0(SALU_CYCLE_1) | instskip(NEXT) | instid1(SALU_CYCLE_1)
	s_xor_b64 s[22:23], s[22:23], s[10:11]
	s_mul_hi_u32 s25, s22, s27
	s_mul_i32 s24, s22, s27
	s_mul_hi_u32 s8, s22, s26
	s_mul_i32 s30, s23, s26
	s_wait_alu 0xfffe
	s_add_nc_u64 s[24:25], s[8:9], s[24:25]
	s_mul_hi_u32 s29, s23, s26
	s_mul_hi_u32 s28, s23, s27
	s_add_co_u32 s8, s24, s30
	s_add_co_ci_u32 s8, s25, s29
	s_mul_i32 s26, s23, s27
	s_add_co_ci_u32 s27, s28, 0
	s_wait_alu 0xfffe
	s_add_nc_u64 s[24:25], s[8:9], s[26:27]
	s_delay_alu instid0(SALU_CYCLE_1) | instskip(NEXT) | instid1(SALU_CYCLE_1)
	s_mul_u64 s[26:27], s[6:7], s[24:25]
	s_sub_co_u32 s8, s22, s26
	s_cselect_b32 s22, -1, 0
	s_sub_co_i32 s26, s23, s27
	s_cmp_lg_u32 s22, 0
	s_sub_co_ci_u32 s26, s26, s7
	s_wait_alu 0xfffe
	s_sub_co_u32 s28, s8, s6
	s_cselect_b32 s29, -1, 0
	s_delay_alu instid0(SALU_CYCLE_1) | instskip(SKIP_1) | instid1(SALU_CYCLE_1)
	s_cmp_lg_u32 s29, 0
	s_sub_co_ci_u32 s26, s26, 0
	s_cmp_ge_u32 s26, s7
	s_cselect_b32 s30, -1, 0
	s_cmp_ge_u32 s28, s6
	s_add_nc_u64 s[28:29], s[24:25], 1
	s_cselect_b32 s31, -1, 0
	s_cmp_eq_u32 s26, s7
	s_cselect_b32 s26, s31, s30
	s_add_nc_u64 s[30:31], s[24:25], 2
	s_cmp_lg_u32 s26, 0
	s_cselect_b32 s26, s30, s28
	s_cselect_b32 s28, s31, s29
	s_cmp_lg_u32 s22, 0
	s_sub_co_ci_u32 s22, s23, s27
	s_delay_alu instid0(SALU_CYCLE_1)
	s_cmp_ge_u32 s22, s7
	s_cselect_b32 s23, -1, 0
	s_cmp_ge_u32 s8, s6
	s_cselect_b32 s6, -1, 0
	s_cmp_eq_u32 s22, s7
	s_cselect_b32 s6, s6, s23
	s_delay_alu instid0(SALU_CYCLE_1) | instskip(SKIP_3) | instid1(SALU_CYCLE_1)
	s_cmp_lg_u32 s6, 0
	s_cselect_b32 s7, s28, s25
	s_cselect_b32 s6, s26, s24
	s_xor_b64 s[4:5], s[10:11], s[4:5]
	s_xor_b64 s[6:7], s[6:7], s[4:5]
	s_delay_alu instid0(SALU_CYCLE_1)
	s_sub_nc_u64 s[22:23], s[6:7], s[4:5]
	s_cbranch_execnz .LBB8_4
.LBB8_3:
	v_cvt_f32_u32_e32 v1, s20
	s_sub_co_i32 s5, 0, s20
	s_mov_b32 s23, 0
	s_delay_alu instid0(VALU_DEP_1) | instskip(NEXT) | instid1(TRANS32_DEP_1)
	v_rcp_iflag_f32_e32 v1, v1
	v_mul_f32_e32 v1, 0x4f7ffffe, v1
	s_delay_alu instid0(VALU_DEP_1) | instskip(NEXT) | instid1(VALU_DEP_1)
	v_cvt_u32_f32_e32 v1, v1
	v_readfirstlane_b32 s4, v1
	s_mul_i32 s5, s5, s4
	s_delay_alu instid0(SALU_CYCLE_1) | instskip(NEXT) | instid1(SALU_CYCLE_1)
	s_mul_hi_u32 s5, s4, s5
	s_add_co_i32 s4, s4, s5
	s_delay_alu instid0(SALU_CYCLE_1) | instskip(NEXT) | instid1(SALU_CYCLE_1)
	s_mul_hi_u32 s4, s18, s4
	s_mul_i32 s5, s4, s20
	s_add_co_i32 s6, s4, 1
	s_sub_co_i32 s5, s18, s5
	s_delay_alu instid0(SALU_CYCLE_1)
	s_sub_co_i32 s7, s5, s20
	s_cmp_ge_u32 s5, s20
	s_cselect_b32 s4, s6, s4
	s_cselect_b32 s5, s7, s5
	s_add_co_i32 s6, s4, 1
	s_cmp_ge_u32 s5, s20
	s_cselect_b32 s22, s6, s4
.LBB8_4:
	s_mul_i32 s24, s15, s14
	s_mov_b32 s4, exec_lo
	v_cmpx_gt_i32_e64 s24, v0
	s_cbranch_execz .LBB8_7
; %bb.5:
	s_abs_i32 s25, s3
	s_load_b256 s[4:11], s[0:1], 0x0
	s_cvt_f32_u32 s30, s25
	s_load_b32 s0, s[0:1], 0x5c
	s_ashr_i32 s29, s12, 31
	s_mov_b32 s28, s12
	v_rcp_iflag_f32_e32 v1, s30
	s_ashr_i32 s31, s13, 31
	s_mov_b32 s30, s13
	s_mul_u64 s[28:29], s[28:29], s[16:17]
	s_wait_alu 0xfffe
	s_mul_u64 s[16:17], s[30:31], s[16:17]
	s_sub_co_i32 s31, 0, s25
	s_ashr_i32 s35, s14, 31
	s_mov_b32 s34, s14
	s_abs_i32 s14, s15
	s_mul_u64 s[26:27], s[22:23], s[20:21]
	v_readfirstlane_b32 s33, v1
	s_cvt_f32_u32 s30, s14
	s_sub_nc_u64 s[18:19], s[18:19], s[26:27]
	s_mul_u64 s[26:27], s[26:27], s[34:35]
	s_ashr_i32 s21, s3, 31
	s_mul_f32 s1, s33, 0x4f7ffffe
	s_mov_b32 s20, s3
	s_wait_alu 0xfffe
	v_rcp_iflag_f32_e32 v1, s30
	s_ashr_i32 s13, s15, 31
	s_cvt_u32_f32 s1, s1
	s_mov_b32 s12, s15
	s_xor_b32 s33, s13, s21
	s_mul_i32 s23, s3, s2
	s_mul_i32 s31, s31, s1
	s_mov_b32 s22, 0
	s_wait_alu 0xfffe
	s_mul_hi_u32 s34, s1, s31
	s_mul_u64 s[30:31], s[26:27], s[20:21]
	s_add_co_i32 s1, s1, s34
	s_mul_u64 s[34:35], s[18:19], s[20:21]
	s_mul_hi_u32 s20, s14, s1
	s_mul_u64 s[26:27], s[26:27], s[12:13]
	s_wait_alu 0xfffe
	s_mul_i32 s12, s20, s25
	s_add_co_i32 s37, s20, 1
	s_sub_co_i32 s12, s14, s12
	v_readfirstlane_b32 s36, v1
	s_sub_co_i32 s38, s12, s25
	s_cmp_ge_u32 s12, s25
	s_cselect_b32 s20, s37, s20
	s_cselect_b32 s12, s38, s12
	s_wait_alu 0xfffe
	s_add_co_i32 s37, s20, 1
	s_cmp_ge_u32 s12, s25
	s_mul_f32 s36, s36, 0x4f7ffffe
	s_cselect_b32 s12, s37, s20
	s_lshl_b64 s[28:29], s[28:29], 2
	s_xor_b32 s12, s12, s33
	s_cvt_u32_f32 s38, s36
	s_sub_co_i32 s36, s12, s33
	s_lshl_b64 s[16:17], s[16:17], 2
	s_ashr_i32 s37, s36, 31
	s_wait_kmcnt 0x0
	s_add_nc_u64 s[4:5], s[4:5], s[28:29]
	s_mul_u64 s[28:29], s[30:31], s[36:37]
	s_sub_co_i32 s20, 0, s14
	s_add_nc_u64 s[6:7], s[6:7], s[16:17]
	s_lshl_b64 s[16:17], s[28:29], 2
	s_wait_alu 0xfffe
	s_mul_i32 s20, s20, s38
	s_add_nc_u64 s[8:9], s[8:9], s[16:17]
	s_lshl_b64 s[16:17], s[26:27], 2
	s_mul_i32 s12, s23, s36
	s_add_nc_u64 s[10:11], s[10:11], s[16:17]
	s_wait_alu 0xfffe
	s_mul_hi_u32 s16, s38, s20
	s_and_b32 s20, s0, 0xffff
	s_add_co_i32 s26, s38, s16
	s_sub_co_i32 s27, 0, s15
	s_sub_co_i32 s3, 0, s3
	s_lshl_b64 s[16:17], s[34:35], 2
	s_lshl_b64 s[18:19], s[18:19], 2
.LBB8_6:                                ; =>This Inner Loop Header: Depth=1
	v_ashrrev_i32_e32 v1, 31, v0
	s_delay_alu instid0(VALU_DEP_1) | instskip(NEXT) | instid1(VALU_DEP_1)
	v_lshlrev_b64_e32 v[2:3], 2, v[0:1]
	v_add_co_u32 v4, vcc_lo, s4, v2
	s_wait_alu 0xfffd
	s_delay_alu instid0(VALU_DEP_2)
	v_add_co_ci_u32_e64 v5, null, s5, v3, vcc_lo
	v_add_co_u32 v2, vcc_lo, s6, v2
	s_wait_alu 0xfffd
	v_add_co_ci_u32_e64 v3, null, s7, v3, vcc_lo
	global_load_b32 v10, v[4:5], off
	global_load_b32 v11, v[2:3], off
	v_sub_nc_u32_e32 v2, 0, v0
	s_delay_alu instid0(VALU_DEP_1) | instskip(NEXT) | instid1(VALU_DEP_1)
	v_max_i32_e32 v2, v0, v2
	v_mul_hi_u32 v3, v2, s26
	s_delay_alu instid0(VALU_DEP_1) | instskip(NEXT) | instid1(VALU_DEP_1)
	v_mul_lo_u32 v4, v3, s14
	v_sub_nc_u32_e32 v2, v2, v4
	v_add_nc_u32_e32 v4, 1, v3
	s_delay_alu instid0(VALU_DEP_2) | instskip(SKIP_2) | instid1(VALU_DEP_2)
	v_subrev_nc_u32_e32 v5, s14, v2
	v_cmp_le_u32_e32 vcc_lo, s14, v2
	s_wait_alu 0xfffd
	v_dual_cndmask_b32 v3, v3, v4 :: v_dual_cndmask_b32 v2, v2, v5
	v_xor_b32_e32 v5, s13, v1
	s_delay_alu instid0(VALU_DEP_2) | instskip(NEXT) | instid1(VALU_DEP_3)
	v_add_nc_u32_e32 v4, 1, v3
	v_cmp_le_u32_e32 vcc_lo, s14, v2
	s_wait_alu 0xfffd
	s_delay_alu instid0(VALU_DEP_2) | instskip(NEXT) | instid1(VALU_DEP_1)
	v_cndmask_b32_e32 v2, v3, v4, vcc_lo
	v_xor_b32_e32 v2, v2, v5
	s_delay_alu instid0(VALU_DEP_1) | instskip(NEXT) | instid1(VALU_DEP_1)
	v_sub_nc_u32_e32 v3, v2, v5
	v_mad_co_u64_u32 v[1:2], null, s27, v3, v[0:1]
	v_mul_lo_u32 v4, v3, s15
	s_delay_alu instid0(VALU_DEP_2) | instskip(NEXT) | instid1(VALU_DEP_1)
	v_ashrrev_i32_e32 v5, 31, v1
	v_sub_nc_u32_e32 v2, v5, v4
	v_mul_lo_u32 v4, v4, s2
	s_delay_alu instid0(VALU_DEP_2) | instskip(SKIP_2) | instid1(VALU_DEP_2)
	v_add_nc_u32_e32 v2, v0, v2
	s_wait_alu 0xfffe
	v_add_nc_u32_e32 v0, s20, v0
	v_xor_b32_e32 v2, v2, v5
	v_xor_b32_e32 v5, s21, v5
	s_delay_alu instid0(VALU_DEP_2) | instskip(NEXT) | instid1(VALU_DEP_1)
	v_mul_hi_u32 v6, v2, s1
	v_mul_lo_u32 v7, v6, s25
	s_delay_alu instid0(VALU_DEP_1) | instskip(SKIP_1) | instid1(VALU_DEP_2)
	v_sub_nc_u32_e32 v2, v2, v7
	v_add_nc_u32_e32 v7, 1, v6
	v_subrev_nc_u32_e32 v8, s25, v2
	v_cmp_le_u32_e32 vcc_lo, s25, v2
	s_wait_alu 0xfffd
	s_delay_alu instid0(VALU_DEP_3) | instskip(NEXT) | instid1(VALU_DEP_3)
	v_cndmask_b32_e32 v6, v6, v7, vcc_lo
	v_cndmask_b32_e32 v7, v2, v8, vcc_lo
	v_mul_lo_u32 v2, s12, v3
	s_delay_alu instid0(VALU_DEP_3) | instskip(NEXT) | instid1(VALU_DEP_3)
	v_add_nc_u32_e32 v8, 1, v6
	v_cmp_le_u32_e32 vcc_lo, s25, v7
	s_wait_alu 0xfffd
	s_delay_alu instid0(VALU_DEP_2) | instskip(SKIP_1) | instid1(VALU_DEP_2)
	v_cndmask_b32_e32 v3, v6, v8, vcc_lo
	v_mul_lo_u32 v6, v1, s2
	v_xor_b32_e32 v7, v3, v5
	v_ashrrev_i32_e32 v3, 31, v2
	s_delay_alu instid0(VALU_DEP_2) | instskip(NEXT) | instid1(VALU_DEP_2)
	v_sub_nc_u32_e32 v12, v7, v5
	v_lshlrev_b64_e32 v[2:3], 2, v[2:3]
	v_ashrrev_i32_e32 v5, 31, v4
	v_ashrrev_i32_e32 v7, 31, v6
	s_delay_alu instid0(VALU_DEP_4) | instskip(NEXT) | instid1(VALU_DEP_4)
	v_mul_lo_u32 v8, s23, v12
	v_add_co_u32 v13, vcc_lo, s8, v2
	s_wait_alu 0xfffd
	v_add_co_ci_u32_e64 v14, null, s9, v3, vcc_lo
	v_lshlrev_b64_e32 v[2:3], 2, v[4:5]
	v_lshlrev_b64_e32 v[6:7], 2, v[6:7]
	v_ashrrev_i32_e32 v9, 31, v8
	v_cmp_le_i32_e32 vcc_lo, s24, v0
	s_delay_alu instid0(VALU_DEP_4) | instskip(NEXT) | instid1(VALU_DEP_3)
	v_mad_co_u64_u32 v[4:5], null, s3, v12, v[1:2]
	v_lshlrev_b64_e32 v[8:9], 2, v[8:9]
	v_add_co_u32 v12, s0, s10, v2
	s_wait_alu 0xf1ff
	v_add_co_ci_u32_e64 v3, null, s11, v3, s0
	s_or_b32 s22, vcc_lo, s22
	v_ashrrev_i32_e32 v5, 31, v4
	v_add_co_u32 v8, s0, v13, v8
	s_wait_alu 0xf1ff
	v_add_co_ci_u32_e64 v9, null, v14, v9, s0
	s_delay_alu instid0(VALU_DEP_3) | instskip(NEXT) | instid1(VALU_DEP_3)
	v_lshlrev_b64_e32 v[1:2], 2, v[4:5]
	v_add_co_u32 v4, s0, v8, s16
	s_wait_alu 0xf1ff
	s_delay_alu instid0(VALU_DEP_3)
	v_add_co_ci_u32_e64 v5, null, s17, v9, s0
	v_add_co_u32 v6, s0, v12, v6
	s_wait_alu 0xf1ff
	v_add_co_ci_u32_e64 v7, null, v3, v7, s0
	v_add_co_u32 v1, s0, v4, v1
	s_wait_alu 0xf1ff
	;; [unrolled: 3-line block ×3, first 2 shown]
	v_add_co_ci_u32_e64 v4, null, s19, v7, s0
	s_wait_loadcnt 0x1
	global_store_b32 v[1:2], v10, off
	s_wait_loadcnt 0x0
	global_store_b32 v[3:4], v11, off
	s_wait_alu 0xfffe
	s_and_not1_b32 exec_lo, exec_lo, s22
	s_cbranch_execnz .LBB8_6
.LBB8_7:
	s_endpgm
.LBB8_8:
                                        ; implicit-def: $sgpr22_sgpr23
	s_branch .LBB8_3
	.section	.rodata,"a",@progbits
	.p2align	6, 0x0
	.amdhsa_kernel _ZN4vllm24reshape_and_cache_kernelIffLNS_18Fp8KVCacheDataTypeE0EEEvPKT_S4_PT0_S6_PKliiiiiiPKfSA_
		.amdhsa_group_segment_fixed_size 0
		.amdhsa_private_segment_fixed_size 0
		.amdhsa_kernarg_size 336
		.amdhsa_user_sgpr_count 2
		.amdhsa_user_sgpr_dispatch_ptr 0
		.amdhsa_user_sgpr_queue_ptr 0
		.amdhsa_user_sgpr_kernarg_segment_ptr 1
		.amdhsa_user_sgpr_dispatch_id 0
		.amdhsa_user_sgpr_private_segment_size 0
		.amdhsa_wavefront_size32 1
		.amdhsa_uses_dynamic_stack 0
		.amdhsa_enable_private_segment 0
		.amdhsa_system_sgpr_workgroup_id_x 1
		.amdhsa_system_sgpr_workgroup_id_y 0
		.amdhsa_system_sgpr_workgroup_id_z 0
		.amdhsa_system_sgpr_workgroup_info 0
		.amdhsa_system_vgpr_workitem_id 0
		.amdhsa_next_free_vgpr 15
		.amdhsa_next_free_sgpr 39
		.amdhsa_reserve_vcc 1
		.amdhsa_float_round_mode_32 0
		.amdhsa_float_round_mode_16_64 0
		.amdhsa_float_denorm_mode_32 3
		.amdhsa_float_denorm_mode_16_64 3
		.amdhsa_fp16_overflow 0
		.amdhsa_workgroup_processor_mode 1
		.amdhsa_memory_ordered 1
		.amdhsa_forward_progress 1
		.amdhsa_inst_pref_size 14
		.amdhsa_round_robin_scheduling 0
		.amdhsa_exception_fp_ieee_invalid_op 0
		.amdhsa_exception_fp_denorm_src 0
		.amdhsa_exception_fp_ieee_div_zero 0
		.amdhsa_exception_fp_ieee_overflow 0
		.amdhsa_exception_fp_ieee_underflow 0
		.amdhsa_exception_fp_ieee_inexact 0
		.amdhsa_exception_int_div_zero 0
	.end_amdhsa_kernel
	.section	.text._ZN4vllm24reshape_and_cache_kernelIffLNS_18Fp8KVCacheDataTypeE0EEEvPKT_S4_PT0_S6_PKliiiiiiPKfSA_,"axG",@progbits,_ZN4vllm24reshape_and_cache_kernelIffLNS_18Fp8KVCacheDataTypeE0EEEvPKT_S4_PT0_S6_PKliiiiiiPKfSA_,comdat
.Lfunc_end8:
	.size	_ZN4vllm24reshape_and_cache_kernelIffLNS_18Fp8KVCacheDataTypeE0EEEvPKT_S4_PT0_S6_PKliiiiiiPKfSA_, .Lfunc_end8-_ZN4vllm24reshape_and_cache_kernelIffLNS_18Fp8KVCacheDataTypeE0EEEvPKT_S4_PT0_S6_PKliiiiiiPKfSA_
                                        ; -- End function
	.set _ZN4vllm24reshape_and_cache_kernelIffLNS_18Fp8KVCacheDataTypeE0EEEvPKT_S4_PT0_S6_PKliiiiiiPKfSA_.num_vgpr, 15
	.set _ZN4vllm24reshape_and_cache_kernelIffLNS_18Fp8KVCacheDataTypeE0EEEvPKT_S4_PT0_S6_PKliiiiiiPKfSA_.num_agpr, 0
	.set _ZN4vllm24reshape_and_cache_kernelIffLNS_18Fp8KVCacheDataTypeE0EEEvPKT_S4_PT0_S6_PKliiiiiiPKfSA_.numbered_sgpr, 39
	.set _ZN4vllm24reshape_and_cache_kernelIffLNS_18Fp8KVCacheDataTypeE0EEEvPKT_S4_PT0_S6_PKliiiiiiPKfSA_.num_named_barrier, 0
	.set _ZN4vllm24reshape_and_cache_kernelIffLNS_18Fp8KVCacheDataTypeE0EEEvPKT_S4_PT0_S6_PKliiiiiiPKfSA_.private_seg_size, 0
	.set _ZN4vllm24reshape_and_cache_kernelIffLNS_18Fp8KVCacheDataTypeE0EEEvPKT_S4_PT0_S6_PKliiiiiiPKfSA_.uses_vcc, 1
	.set _ZN4vllm24reshape_and_cache_kernelIffLNS_18Fp8KVCacheDataTypeE0EEEvPKT_S4_PT0_S6_PKliiiiiiPKfSA_.uses_flat_scratch, 0
	.set _ZN4vllm24reshape_and_cache_kernelIffLNS_18Fp8KVCacheDataTypeE0EEEvPKT_S4_PT0_S6_PKliiiiiiPKfSA_.has_dyn_sized_stack, 0
	.set _ZN4vllm24reshape_and_cache_kernelIffLNS_18Fp8KVCacheDataTypeE0EEEvPKT_S4_PT0_S6_PKliiiiiiPKfSA_.has_recursion, 0
	.set _ZN4vllm24reshape_and_cache_kernelIffLNS_18Fp8KVCacheDataTypeE0EEEvPKT_S4_PT0_S6_PKliiiiiiPKfSA_.has_indirect_call, 0
	.section	.AMDGPU.csdata,"",@progbits
; Kernel info:
; codeLenInByte = 1748
; TotalNumSgprs: 41
; NumVgprs: 15
; ScratchSize: 0
; MemoryBound: 0
; FloatMode: 240
; IeeeMode: 1
; LDSByteSize: 0 bytes/workgroup (compile time only)
; SGPRBlocks: 0
; VGPRBlocks: 1
; NumSGPRsForWavesPerEU: 41
; NumVGPRsForWavesPerEU: 15
; Occupancy: 16
; WaveLimiterHint : 1
; COMPUTE_PGM_RSRC2:SCRATCH_EN: 0
; COMPUTE_PGM_RSRC2:USER_SGPR: 2
; COMPUTE_PGM_RSRC2:TRAP_HANDLER: 0
; COMPUTE_PGM_RSRC2:TGID_X_EN: 1
; COMPUTE_PGM_RSRC2:TGID_Y_EN: 0
; COMPUTE_PGM_RSRC2:TGID_Z_EN: 0
; COMPUTE_PGM_RSRC2:TIDIG_COMP_CNT: 0
	.section	.text._ZN4vllm24reshape_and_cache_kernelIttLNS_18Fp8KVCacheDataTypeE0EEEvPKT_S4_PT0_S6_PKliiiiiiPKfSA_,"axG",@progbits,_ZN4vllm24reshape_and_cache_kernelIttLNS_18Fp8KVCacheDataTypeE0EEEvPKT_S4_PT0_S6_PKliiiiiiPKfSA_,comdat
	.protected	_ZN4vllm24reshape_and_cache_kernelIttLNS_18Fp8KVCacheDataTypeE0EEEvPKT_S4_PT0_S6_PKliiiiiiPKfSA_ ; -- Begin function _ZN4vllm24reshape_and_cache_kernelIttLNS_18Fp8KVCacheDataTypeE0EEEvPKT_S4_PT0_S6_PKliiiiiiPKfSA_
	.globl	_ZN4vllm24reshape_and_cache_kernelIttLNS_18Fp8KVCacheDataTypeE0EEEvPKT_S4_PT0_S6_PKliiiiiiPKfSA_
	.p2align	8
	.type	_ZN4vllm24reshape_and_cache_kernelIttLNS_18Fp8KVCacheDataTypeE0EEEvPKT_S4_PT0_S6_PKliiiiiiPKfSA_,@function
_ZN4vllm24reshape_and_cache_kernelIttLNS_18Fp8KVCacheDataTypeE0EEEvPKT_S4_PT0_S6_PKliiiiiiPKfSA_: ; @_ZN4vllm24reshape_and_cache_kernelIttLNS_18Fp8KVCacheDataTypeE0EEEvPKT_S4_PT0_S6_PKliiiiiiPKfSA_
; %bb.0:
	s_load_b64 s[2:3], s[0:1], 0x20
	s_mov_b32 s16, ttmp9
	s_mov_b32 s17, 0
	s_delay_alu instid0(SALU_CYCLE_1)
	s_lshl_b64 s[4:5], s[16:17], 3
	s_wait_kmcnt 0x0
	s_add_nc_u64 s[2:3], s[2:3], s[4:5]
	s_load_b64 s[18:19], s[2:3], 0x0
	s_wait_kmcnt 0x0
	v_cmp_lt_i64_e64 s2, s[18:19], 0
	s_and_b32 vcc_lo, exec_lo, s2
	s_cbranch_vccnz .LBB9_7
; %bb.1:
	s_clause 0x1
	s_load_b64 s[2:3], s[0:1], 0x38
	s_load_b128 s[12:15], s[0:1], 0x28
	s_wait_kmcnt 0x0
	s_ashr_i32 s21, s2, 31
	s_mov_b32 s20, s2
	s_delay_alu instid0(SALU_CYCLE_1) | instskip(SKIP_1) | instid1(SALU_CYCLE_1)
	s_or_b64 s[4:5], s[18:19], s[20:21]
	s_mov_b32 s4, s17
	s_cmp_lg_u64 s[4:5], 0
	s_cbranch_scc0 .LBB9_8
; %bb.2:
	s_ashr_i32 s4, s21, 31
	s_delay_alu instid0(SALU_CYCLE_1) | instskip(NEXT) | instid1(SALU_CYCLE_1)
	s_mov_b32 s5, s4
	s_add_nc_u64 s[6:7], s[20:21], s[4:5]
	s_delay_alu instid0(SALU_CYCLE_1) | instskip(NEXT) | instid1(SALU_CYCLE_1)
	s_xor_b64 s[6:7], s[6:7], s[4:5]
	s_cvt_f32_u32 s8, s6
	s_cvt_f32_u32 s9, s7
	s_sub_nc_u64 s[22:23], 0, s[6:7]
	s_delay_alu instid0(SALU_CYCLE_2) | instskip(NEXT) | instid1(SALU_CYCLE_3)
	s_fmamk_f32 s8, s9, 0x4f800000, s8
	v_s_rcp_f32 s8, s8
	s_delay_alu instid0(TRANS32_DEP_1) | instskip(SKIP_1) | instid1(SALU_CYCLE_2)
	s_mul_f32 s8, s8, 0x5f7ffffc
	s_wait_alu 0xfffe
	s_mul_f32 s9, s8, 0x2f800000
	s_wait_alu 0xfffe
	s_delay_alu instid0(SALU_CYCLE_2) | instskip(SKIP_1) | instid1(SALU_CYCLE_2)
	s_trunc_f32 s9, s9
	s_wait_alu 0xfffe
	s_fmamk_f32 s8, s9, 0xcf800000, s8
	s_cvt_u32_f32 s11, s9
	s_mov_b32 s9, 0
	s_wait_alu 0xfffe
	s_cvt_u32_f32 s10, s8
	s_delay_alu instid0(SALU_CYCLE_3) | instskip(NEXT) | instid1(SALU_CYCLE_1)
	s_mul_u64 s[24:25], s[22:23], s[10:11]
	s_mul_hi_u32 s27, s10, s25
	s_mul_i32 s26, s10, s25
	s_mul_hi_u32 s8, s10, s24
	s_mul_i32 s29, s11, s24
	s_wait_alu 0xfffe
	s_add_nc_u64 s[26:27], s[8:9], s[26:27]
	s_mul_hi_u32 s28, s11, s24
	s_mul_hi_u32 s30, s11, s25
	s_add_co_u32 s8, s26, s29
	s_add_co_ci_u32 s8, s27, s28
	s_mul_i32 s24, s11, s25
	s_add_co_ci_u32 s25, s30, 0
	s_wait_alu 0xfffe
	s_add_nc_u64 s[24:25], s[8:9], s[24:25]
	s_delay_alu instid0(SALU_CYCLE_1) | instskip(SKIP_4) | instid1(SALU_CYCLE_1)
	s_add_co_u32 s10, s10, s24
	s_cselect_b32 s8, -1, 0
	s_wait_alu 0xfffe
	s_cmp_lg_u32 s8, 0
	s_add_co_ci_u32 s11, s11, s25
	s_mul_u64 s[22:23], s[22:23], s[10:11]
	s_delay_alu instid0(SALU_CYCLE_1)
	s_mul_hi_u32 s25, s10, s23
	s_mul_i32 s24, s10, s23
	s_mul_hi_u32 s8, s10, s22
	s_mul_i32 s27, s11, s22
	s_wait_alu 0xfffe
	s_add_nc_u64 s[24:25], s[8:9], s[24:25]
	s_mul_hi_u32 s26, s11, s22
	s_mul_hi_u32 s28, s11, s23
	s_add_co_u32 s8, s24, s27
	s_add_co_ci_u32 s8, s25, s26
	s_mul_i32 s22, s11, s23
	s_add_co_ci_u32 s23, s28, 0
	s_wait_alu 0xfffe
	s_add_nc_u64 s[22:23], s[8:9], s[22:23]
	s_delay_alu instid0(SALU_CYCLE_1)
	s_add_co_u32 s26, s10, s22
	s_cselect_b32 s8, -1, 0
	s_wait_alu 0xfffe
	s_cmp_lg_u32 s8, 0
	s_add_co_ci_u32 s27, s11, s23
	s_ashr_i32 s10, s19, 31
	s_delay_alu instid0(SALU_CYCLE_1) | instskip(NEXT) | instid1(SALU_CYCLE_1)
	s_mov_b32 s11, s10
	s_add_nc_u64 s[22:23], s[18:19], s[10:11]
	s_delay_alu instid0(SALU_CYCLE_1) | instskip(NEXT) | instid1(SALU_CYCLE_1)
	s_xor_b64 s[22:23], s[22:23], s[10:11]
	s_mul_hi_u32 s25, s22, s27
	s_mul_i32 s24, s22, s27
	s_mul_hi_u32 s8, s22, s26
	s_mul_i32 s30, s23, s26
	s_wait_alu 0xfffe
	s_add_nc_u64 s[24:25], s[8:9], s[24:25]
	s_mul_hi_u32 s29, s23, s26
	s_mul_hi_u32 s28, s23, s27
	s_add_co_u32 s8, s24, s30
	s_add_co_ci_u32 s8, s25, s29
	s_mul_i32 s26, s23, s27
	s_add_co_ci_u32 s27, s28, 0
	s_wait_alu 0xfffe
	s_add_nc_u64 s[24:25], s[8:9], s[26:27]
	s_delay_alu instid0(SALU_CYCLE_1) | instskip(NEXT) | instid1(SALU_CYCLE_1)
	s_mul_u64 s[26:27], s[6:7], s[24:25]
	s_sub_co_u32 s8, s22, s26
	s_cselect_b32 s22, -1, 0
	s_sub_co_i32 s26, s23, s27
	s_cmp_lg_u32 s22, 0
	s_sub_co_ci_u32 s26, s26, s7
	s_wait_alu 0xfffe
	s_sub_co_u32 s28, s8, s6
	s_cselect_b32 s29, -1, 0
	s_delay_alu instid0(SALU_CYCLE_1) | instskip(SKIP_1) | instid1(SALU_CYCLE_1)
	s_cmp_lg_u32 s29, 0
	s_sub_co_ci_u32 s26, s26, 0
	s_cmp_ge_u32 s26, s7
	s_cselect_b32 s30, -1, 0
	s_cmp_ge_u32 s28, s6
	s_add_nc_u64 s[28:29], s[24:25], 1
	s_cselect_b32 s31, -1, 0
	s_cmp_eq_u32 s26, s7
	s_cselect_b32 s26, s31, s30
	s_add_nc_u64 s[30:31], s[24:25], 2
	s_cmp_lg_u32 s26, 0
	s_cselect_b32 s26, s30, s28
	s_cselect_b32 s28, s31, s29
	s_cmp_lg_u32 s22, 0
	s_sub_co_ci_u32 s22, s23, s27
	s_delay_alu instid0(SALU_CYCLE_1)
	s_cmp_ge_u32 s22, s7
	s_cselect_b32 s23, -1, 0
	s_cmp_ge_u32 s8, s6
	s_cselect_b32 s6, -1, 0
	s_cmp_eq_u32 s22, s7
	s_cselect_b32 s6, s6, s23
	s_delay_alu instid0(SALU_CYCLE_1) | instskip(SKIP_3) | instid1(SALU_CYCLE_1)
	s_cmp_lg_u32 s6, 0
	s_cselect_b32 s7, s28, s25
	s_cselect_b32 s6, s26, s24
	s_xor_b64 s[4:5], s[10:11], s[4:5]
	s_xor_b64 s[6:7], s[6:7], s[4:5]
	s_delay_alu instid0(SALU_CYCLE_1)
	s_sub_nc_u64 s[22:23], s[6:7], s[4:5]
	s_cbranch_execnz .LBB9_4
.LBB9_3:
	v_cvt_f32_u32_e32 v1, s20
	s_sub_co_i32 s5, 0, s20
	s_mov_b32 s23, 0
	s_delay_alu instid0(VALU_DEP_1) | instskip(NEXT) | instid1(TRANS32_DEP_1)
	v_rcp_iflag_f32_e32 v1, v1
	v_mul_f32_e32 v1, 0x4f7ffffe, v1
	s_delay_alu instid0(VALU_DEP_1) | instskip(NEXT) | instid1(VALU_DEP_1)
	v_cvt_u32_f32_e32 v1, v1
	v_readfirstlane_b32 s4, v1
	s_mul_i32 s5, s5, s4
	s_delay_alu instid0(SALU_CYCLE_1) | instskip(NEXT) | instid1(SALU_CYCLE_1)
	s_mul_hi_u32 s5, s4, s5
	s_add_co_i32 s4, s4, s5
	s_delay_alu instid0(SALU_CYCLE_1) | instskip(NEXT) | instid1(SALU_CYCLE_1)
	s_mul_hi_u32 s4, s18, s4
	s_mul_i32 s5, s4, s20
	s_add_co_i32 s6, s4, 1
	s_sub_co_i32 s5, s18, s5
	s_delay_alu instid0(SALU_CYCLE_1)
	s_sub_co_i32 s7, s5, s20
	s_cmp_ge_u32 s5, s20
	s_cselect_b32 s4, s6, s4
	s_cselect_b32 s5, s7, s5
	s_add_co_i32 s6, s4, 1
	s_cmp_ge_u32 s5, s20
	s_cselect_b32 s22, s6, s4
.LBB9_4:
	s_mul_i32 s24, s15, s14
	s_mov_b32 s4, exec_lo
	v_cmpx_gt_i32_e64 s24, v0
	s_cbranch_execz .LBB9_7
; %bb.5:
	s_abs_i32 s25, s3
	s_load_b256 s[4:11], s[0:1], 0x0
	s_cvt_f32_u32 s30, s25
	s_load_b32 s0, s[0:1], 0x5c
	s_ashr_i32 s29, s12, 31
	s_mov_b32 s28, s12
	v_rcp_iflag_f32_e32 v1, s30
	s_ashr_i32 s31, s13, 31
	s_mov_b32 s30, s13
	s_mul_u64 s[28:29], s[28:29], s[16:17]
	s_wait_alu 0xfffe
	s_mul_u64 s[16:17], s[30:31], s[16:17]
	s_sub_co_i32 s31, 0, s25
	s_ashr_i32 s35, s14, 31
	s_mov_b32 s34, s14
	s_abs_i32 s14, s15
	s_mul_u64 s[26:27], s[22:23], s[20:21]
	v_readfirstlane_b32 s33, v1
	s_cvt_f32_u32 s30, s14
	s_sub_nc_u64 s[18:19], s[18:19], s[26:27]
	s_mul_u64 s[26:27], s[26:27], s[34:35]
	s_ashr_i32 s21, s3, 31
	s_mul_f32 s1, s33, 0x4f7ffffe
	s_mov_b32 s20, s3
	s_wait_alu 0xfffe
	v_rcp_iflag_f32_e32 v1, s30
	s_ashr_i32 s13, s15, 31
	s_cvt_u32_f32 s1, s1
	s_mov_b32 s12, s15
	s_xor_b32 s33, s13, s21
	s_mul_i32 s23, s3, s2
	s_mul_i32 s31, s31, s1
	s_mov_b32 s22, 0
	s_wait_alu 0xfffe
	s_mul_hi_u32 s34, s1, s31
	s_mul_u64 s[30:31], s[26:27], s[20:21]
	s_add_co_i32 s1, s1, s34
	s_mul_u64 s[34:35], s[18:19], s[20:21]
	s_mul_hi_u32 s20, s14, s1
	s_mul_u64 s[26:27], s[26:27], s[12:13]
	s_wait_alu 0xfffe
	s_mul_i32 s12, s20, s25
	s_add_co_i32 s37, s20, 1
	s_sub_co_i32 s12, s14, s12
	v_readfirstlane_b32 s36, v1
	s_sub_co_i32 s38, s12, s25
	s_cmp_ge_u32 s12, s25
	s_cselect_b32 s20, s37, s20
	s_cselect_b32 s12, s38, s12
	s_wait_alu 0xfffe
	s_add_co_i32 s37, s20, 1
	s_cmp_ge_u32 s12, s25
	s_mul_f32 s36, s36, 0x4f7ffffe
	s_cselect_b32 s12, s37, s20
	s_lshl_b64 s[28:29], s[28:29], 1
	s_xor_b32 s12, s12, s33
	s_cvt_u32_f32 s38, s36
	s_sub_co_i32 s36, s12, s33
	s_lshl_b64 s[16:17], s[16:17], 1
	s_ashr_i32 s37, s36, 31
	s_wait_kmcnt 0x0
	s_add_nc_u64 s[4:5], s[4:5], s[28:29]
	s_mul_u64 s[28:29], s[30:31], s[36:37]
	s_sub_co_i32 s20, 0, s14
	s_add_nc_u64 s[6:7], s[6:7], s[16:17]
	s_lshl_b64 s[16:17], s[28:29], 1
	s_wait_alu 0xfffe
	s_mul_i32 s20, s20, s38
	s_add_nc_u64 s[8:9], s[8:9], s[16:17]
	s_lshl_b64 s[16:17], s[26:27], 1
	s_mul_i32 s12, s23, s36
	s_add_nc_u64 s[10:11], s[10:11], s[16:17]
	s_wait_alu 0xfffe
	s_mul_hi_u32 s16, s38, s20
	s_and_b32 s20, s0, 0xffff
	s_add_co_i32 s26, s38, s16
	s_sub_co_i32 s27, 0, s15
	s_sub_co_i32 s3, 0, s3
	s_lshl_b64 s[16:17], s[34:35], 1
	s_lshl_b64 s[18:19], s[18:19], 1
.LBB9_6:                                ; =>This Inner Loop Header: Depth=1
	v_ashrrev_i32_e32 v1, 31, v0
	s_delay_alu instid0(VALU_DEP_1) | instskip(NEXT) | instid1(VALU_DEP_1)
	v_lshlrev_b64_e32 v[2:3], 1, v[0:1]
	v_add_co_u32 v4, vcc_lo, s4, v2
	s_wait_alu 0xfffd
	s_delay_alu instid0(VALU_DEP_2)
	v_add_co_ci_u32_e64 v5, null, s5, v3, vcc_lo
	v_add_co_u32 v2, vcc_lo, s6, v2
	s_wait_alu 0xfffd
	v_add_co_ci_u32_e64 v3, null, s7, v3, vcc_lo
	global_load_u16 v10, v[4:5], off
	global_load_u16 v11, v[2:3], off
	v_sub_nc_u32_e32 v2, 0, v0
	s_delay_alu instid0(VALU_DEP_1) | instskip(NEXT) | instid1(VALU_DEP_1)
	v_max_i32_e32 v2, v0, v2
	v_mul_hi_u32 v3, v2, s26
	s_delay_alu instid0(VALU_DEP_1) | instskip(NEXT) | instid1(VALU_DEP_1)
	v_mul_lo_u32 v4, v3, s14
	v_sub_nc_u32_e32 v2, v2, v4
	v_add_nc_u32_e32 v4, 1, v3
	s_delay_alu instid0(VALU_DEP_2) | instskip(SKIP_2) | instid1(VALU_DEP_2)
	v_subrev_nc_u32_e32 v5, s14, v2
	v_cmp_le_u32_e32 vcc_lo, s14, v2
	s_wait_alu 0xfffd
	v_dual_cndmask_b32 v3, v3, v4 :: v_dual_cndmask_b32 v2, v2, v5
	v_xor_b32_e32 v5, s13, v1
	s_delay_alu instid0(VALU_DEP_2) | instskip(NEXT) | instid1(VALU_DEP_3)
	v_add_nc_u32_e32 v4, 1, v3
	v_cmp_le_u32_e32 vcc_lo, s14, v2
	s_wait_alu 0xfffd
	s_delay_alu instid0(VALU_DEP_2) | instskip(NEXT) | instid1(VALU_DEP_1)
	v_cndmask_b32_e32 v2, v3, v4, vcc_lo
	v_xor_b32_e32 v2, v2, v5
	s_delay_alu instid0(VALU_DEP_1) | instskip(NEXT) | instid1(VALU_DEP_1)
	v_sub_nc_u32_e32 v3, v2, v5
	v_mad_co_u64_u32 v[1:2], null, s27, v3, v[0:1]
	v_mul_lo_u32 v4, v3, s15
	s_delay_alu instid0(VALU_DEP_2) | instskip(NEXT) | instid1(VALU_DEP_1)
	v_ashrrev_i32_e32 v5, 31, v1
	v_sub_nc_u32_e32 v2, v5, v4
	v_mul_lo_u32 v4, v4, s2
	s_delay_alu instid0(VALU_DEP_2) | instskip(SKIP_2) | instid1(VALU_DEP_2)
	v_add_nc_u32_e32 v2, v0, v2
	s_wait_alu 0xfffe
	v_add_nc_u32_e32 v0, s20, v0
	v_xor_b32_e32 v2, v2, v5
	v_xor_b32_e32 v5, s21, v5
	s_delay_alu instid0(VALU_DEP_2) | instskip(NEXT) | instid1(VALU_DEP_1)
	v_mul_hi_u32 v6, v2, s1
	v_mul_lo_u32 v7, v6, s25
	s_delay_alu instid0(VALU_DEP_1) | instskip(SKIP_1) | instid1(VALU_DEP_2)
	v_sub_nc_u32_e32 v2, v2, v7
	v_add_nc_u32_e32 v7, 1, v6
	v_subrev_nc_u32_e32 v8, s25, v2
	v_cmp_le_u32_e32 vcc_lo, s25, v2
	s_wait_alu 0xfffd
	s_delay_alu instid0(VALU_DEP_3) | instskip(NEXT) | instid1(VALU_DEP_3)
	v_cndmask_b32_e32 v6, v6, v7, vcc_lo
	v_cndmask_b32_e32 v7, v2, v8, vcc_lo
	v_mul_lo_u32 v2, s12, v3
	s_delay_alu instid0(VALU_DEP_3) | instskip(NEXT) | instid1(VALU_DEP_3)
	v_add_nc_u32_e32 v8, 1, v6
	v_cmp_le_u32_e32 vcc_lo, s25, v7
	s_wait_alu 0xfffd
	s_delay_alu instid0(VALU_DEP_2) | instskip(SKIP_1) | instid1(VALU_DEP_2)
	v_cndmask_b32_e32 v3, v6, v8, vcc_lo
	v_mul_lo_u32 v6, v1, s2
	v_xor_b32_e32 v7, v3, v5
	v_ashrrev_i32_e32 v3, 31, v2
	s_delay_alu instid0(VALU_DEP_2) | instskip(NEXT) | instid1(VALU_DEP_2)
	v_sub_nc_u32_e32 v12, v7, v5
	v_lshlrev_b64_e32 v[2:3], 1, v[2:3]
	v_ashrrev_i32_e32 v5, 31, v4
	v_ashrrev_i32_e32 v7, 31, v6
	s_delay_alu instid0(VALU_DEP_4) | instskip(NEXT) | instid1(VALU_DEP_4)
	v_mul_lo_u32 v8, s23, v12
	v_add_co_u32 v13, vcc_lo, s8, v2
	s_wait_alu 0xfffd
	v_add_co_ci_u32_e64 v14, null, s9, v3, vcc_lo
	v_lshlrev_b64_e32 v[2:3], 1, v[4:5]
	v_lshlrev_b64_e32 v[6:7], 1, v[6:7]
	v_ashrrev_i32_e32 v9, 31, v8
	v_cmp_le_i32_e32 vcc_lo, s24, v0
	s_delay_alu instid0(VALU_DEP_4) | instskip(NEXT) | instid1(VALU_DEP_3)
	v_mad_co_u64_u32 v[4:5], null, s3, v12, v[1:2]
	v_lshlrev_b64_e32 v[8:9], 1, v[8:9]
	v_add_co_u32 v12, s0, s10, v2
	s_wait_alu 0xf1ff
	v_add_co_ci_u32_e64 v3, null, s11, v3, s0
	s_or_b32 s22, vcc_lo, s22
	v_ashrrev_i32_e32 v5, 31, v4
	v_add_co_u32 v8, s0, v13, v8
	s_wait_alu 0xf1ff
	v_add_co_ci_u32_e64 v9, null, v14, v9, s0
	s_delay_alu instid0(VALU_DEP_3) | instskip(NEXT) | instid1(VALU_DEP_3)
	v_lshlrev_b64_e32 v[1:2], 1, v[4:5]
	v_add_co_u32 v4, s0, v8, s16
	s_wait_alu 0xf1ff
	s_delay_alu instid0(VALU_DEP_3)
	v_add_co_ci_u32_e64 v5, null, s17, v9, s0
	v_add_co_u32 v6, s0, v12, v6
	s_wait_alu 0xf1ff
	v_add_co_ci_u32_e64 v7, null, v3, v7, s0
	v_add_co_u32 v1, s0, v4, v1
	s_wait_alu 0xf1ff
	;; [unrolled: 3-line block ×3, first 2 shown]
	v_add_co_ci_u32_e64 v4, null, s19, v7, s0
	s_wait_loadcnt 0x1
	global_store_b16 v[1:2], v10, off
	s_wait_loadcnt 0x0
	global_store_b16 v[3:4], v11, off
	s_wait_alu 0xfffe
	s_and_not1_b32 exec_lo, exec_lo, s22
	s_cbranch_execnz .LBB9_6
.LBB9_7:
	s_endpgm
.LBB9_8:
                                        ; implicit-def: $sgpr22_sgpr23
	s_branch .LBB9_3
	.section	.rodata,"a",@progbits
	.p2align	6, 0x0
	.amdhsa_kernel _ZN4vllm24reshape_and_cache_kernelIttLNS_18Fp8KVCacheDataTypeE0EEEvPKT_S4_PT0_S6_PKliiiiiiPKfSA_
		.amdhsa_group_segment_fixed_size 0
		.amdhsa_private_segment_fixed_size 0
		.amdhsa_kernarg_size 336
		.amdhsa_user_sgpr_count 2
		.amdhsa_user_sgpr_dispatch_ptr 0
		.amdhsa_user_sgpr_queue_ptr 0
		.amdhsa_user_sgpr_kernarg_segment_ptr 1
		.amdhsa_user_sgpr_dispatch_id 0
		.amdhsa_user_sgpr_private_segment_size 0
		.amdhsa_wavefront_size32 1
		.amdhsa_uses_dynamic_stack 0
		.amdhsa_enable_private_segment 0
		.amdhsa_system_sgpr_workgroup_id_x 1
		.amdhsa_system_sgpr_workgroup_id_y 0
		.amdhsa_system_sgpr_workgroup_id_z 0
		.amdhsa_system_sgpr_workgroup_info 0
		.amdhsa_system_vgpr_workitem_id 0
		.amdhsa_next_free_vgpr 15
		.amdhsa_next_free_sgpr 39
		.amdhsa_reserve_vcc 1
		.amdhsa_float_round_mode_32 0
		.amdhsa_float_round_mode_16_64 0
		.amdhsa_float_denorm_mode_32 3
		.amdhsa_float_denorm_mode_16_64 3
		.amdhsa_fp16_overflow 0
		.amdhsa_workgroup_processor_mode 1
		.amdhsa_memory_ordered 1
		.amdhsa_forward_progress 1
		.amdhsa_inst_pref_size 14
		.amdhsa_round_robin_scheduling 0
		.amdhsa_exception_fp_ieee_invalid_op 0
		.amdhsa_exception_fp_denorm_src 0
		.amdhsa_exception_fp_ieee_div_zero 0
		.amdhsa_exception_fp_ieee_overflow 0
		.amdhsa_exception_fp_ieee_underflow 0
		.amdhsa_exception_fp_ieee_inexact 0
		.amdhsa_exception_int_div_zero 0
	.end_amdhsa_kernel
	.section	.text._ZN4vllm24reshape_and_cache_kernelIttLNS_18Fp8KVCacheDataTypeE0EEEvPKT_S4_PT0_S6_PKliiiiiiPKfSA_,"axG",@progbits,_ZN4vllm24reshape_and_cache_kernelIttLNS_18Fp8KVCacheDataTypeE0EEEvPKT_S4_PT0_S6_PKliiiiiiPKfSA_,comdat
.Lfunc_end9:
	.size	_ZN4vllm24reshape_and_cache_kernelIttLNS_18Fp8KVCacheDataTypeE0EEEvPKT_S4_PT0_S6_PKliiiiiiPKfSA_, .Lfunc_end9-_ZN4vllm24reshape_and_cache_kernelIttLNS_18Fp8KVCacheDataTypeE0EEEvPKT_S4_PT0_S6_PKliiiiiiPKfSA_
                                        ; -- End function
	.set _ZN4vllm24reshape_and_cache_kernelIttLNS_18Fp8KVCacheDataTypeE0EEEvPKT_S4_PT0_S6_PKliiiiiiPKfSA_.num_vgpr, 15
	.set _ZN4vllm24reshape_and_cache_kernelIttLNS_18Fp8KVCacheDataTypeE0EEEvPKT_S4_PT0_S6_PKliiiiiiPKfSA_.num_agpr, 0
	.set _ZN4vllm24reshape_and_cache_kernelIttLNS_18Fp8KVCacheDataTypeE0EEEvPKT_S4_PT0_S6_PKliiiiiiPKfSA_.numbered_sgpr, 39
	.set _ZN4vllm24reshape_and_cache_kernelIttLNS_18Fp8KVCacheDataTypeE0EEEvPKT_S4_PT0_S6_PKliiiiiiPKfSA_.num_named_barrier, 0
	.set _ZN4vllm24reshape_and_cache_kernelIttLNS_18Fp8KVCacheDataTypeE0EEEvPKT_S4_PT0_S6_PKliiiiiiPKfSA_.private_seg_size, 0
	.set _ZN4vllm24reshape_and_cache_kernelIttLNS_18Fp8KVCacheDataTypeE0EEEvPKT_S4_PT0_S6_PKliiiiiiPKfSA_.uses_vcc, 1
	.set _ZN4vllm24reshape_and_cache_kernelIttLNS_18Fp8KVCacheDataTypeE0EEEvPKT_S4_PT0_S6_PKliiiiiiPKfSA_.uses_flat_scratch, 0
	.set _ZN4vllm24reshape_and_cache_kernelIttLNS_18Fp8KVCacheDataTypeE0EEEvPKT_S4_PT0_S6_PKliiiiiiPKfSA_.has_dyn_sized_stack, 0
	.set _ZN4vllm24reshape_and_cache_kernelIttLNS_18Fp8KVCacheDataTypeE0EEEvPKT_S4_PT0_S6_PKliiiiiiPKfSA_.has_recursion, 0
	.set _ZN4vllm24reshape_and_cache_kernelIttLNS_18Fp8KVCacheDataTypeE0EEEvPKT_S4_PT0_S6_PKliiiiiiPKfSA_.has_indirect_call, 0
	.section	.AMDGPU.csdata,"",@progbits
; Kernel info:
; codeLenInByte = 1748
; TotalNumSgprs: 41
; NumVgprs: 15
; ScratchSize: 0
; MemoryBound: 0
; FloatMode: 240
; IeeeMode: 1
; LDSByteSize: 0 bytes/workgroup (compile time only)
; SGPRBlocks: 0
; VGPRBlocks: 1
; NumSGPRsForWavesPerEU: 41
; NumVGPRsForWavesPerEU: 15
; Occupancy: 16
; WaveLimiterHint : 1
; COMPUTE_PGM_RSRC2:SCRATCH_EN: 0
; COMPUTE_PGM_RSRC2:USER_SGPR: 2
; COMPUTE_PGM_RSRC2:TRAP_HANDLER: 0
; COMPUTE_PGM_RSRC2:TGID_X_EN: 1
; COMPUTE_PGM_RSRC2:TGID_Y_EN: 0
; COMPUTE_PGM_RSRC2:TGID_Z_EN: 0
; COMPUTE_PGM_RSRC2:TIDIG_COMP_CNT: 0
	.section	.text._ZN4vllm24reshape_and_cache_kernelI14__hip_bfloat16S1_LNS_18Fp8KVCacheDataTypeE0EEEvPKT_S5_PT0_S7_PKliiiiiiPKfSB_,"axG",@progbits,_ZN4vllm24reshape_and_cache_kernelI14__hip_bfloat16S1_LNS_18Fp8KVCacheDataTypeE0EEEvPKT_S5_PT0_S7_PKliiiiiiPKfSB_,comdat
	.protected	_ZN4vllm24reshape_and_cache_kernelI14__hip_bfloat16S1_LNS_18Fp8KVCacheDataTypeE0EEEvPKT_S5_PT0_S7_PKliiiiiiPKfSB_ ; -- Begin function _ZN4vllm24reshape_and_cache_kernelI14__hip_bfloat16S1_LNS_18Fp8KVCacheDataTypeE0EEEvPKT_S5_PT0_S7_PKliiiiiiPKfSB_
	.globl	_ZN4vllm24reshape_and_cache_kernelI14__hip_bfloat16S1_LNS_18Fp8KVCacheDataTypeE0EEEvPKT_S5_PT0_S7_PKliiiiiiPKfSB_
	.p2align	8
	.type	_ZN4vllm24reshape_and_cache_kernelI14__hip_bfloat16S1_LNS_18Fp8KVCacheDataTypeE0EEEvPKT_S5_PT0_S7_PKliiiiiiPKfSB_,@function
_ZN4vllm24reshape_and_cache_kernelI14__hip_bfloat16S1_LNS_18Fp8KVCacheDataTypeE0EEEvPKT_S5_PT0_S7_PKliiiiiiPKfSB_: ; @_ZN4vllm24reshape_and_cache_kernelI14__hip_bfloat16S1_LNS_18Fp8KVCacheDataTypeE0EEEvPKT_S5_PT0_S7_PKliiiiiiPKfSB_
; %bb.0:
	s_load_b64 s[2:3], s[0:1], 0x20
	s_mov_b32 s16, ttmp9
	s_mov_b32 s17, 0
	s_delay_alu instid0(SALU_CYCLE_1)
	s_lshl_b64 s[4:5], s[16:17], 3
	s_wait_kmcnt 0x0
	s_add_nc_u64 s[2:3], s[2:3], s[4:5]
	s_load_b64 s[18:19], s[2:3], 0x0
	s_wait_kmcnt 0x0
	v_cmp_lt_i64_e64 s2, s[18:19], 0
	s_and_b32 vcc_lo, exec_lo, s2
	s_cbranch_vccnz .LBB10_7
; %bb.1:
	s_clause 0x1
	s_load_b64 s[2:3], s[0:1], 0x38
	s_load_b128 s[12:15], s[0:1], 0x28
	s_wait_kmcnt 0x0
	s_ashr_i32 s21, s2, 31
	s_mov_b32 s20, s2
	s_delay_alu instid0(SALU_CYCLE_1) | instskip(SKIP_1) | instid1(SALU_CYCLE_1)
	s_or_b64 s[4:5], s[18:19], s[20:21]
	s_mov_b32 s4, s17
	s_cmp_lg_u64 s[4:5], 0
	s_cbranch_scc0 .LBB10_8
; %bb.2:
	s_ashr_i32 s4, s21, 31
	s_delay_alu instid0(SALU_CYCLE_1) | instskip(NEXT) | instid1(SALU_CYCLE_1)
	s_mov_b32 s5, s4
	s_add_nc_u64 s[6:7], s[20:21], s[4:5]
	s_delay_alu instid0(SALU_CYCLE_1) | instskip(NEXT) | instid1(SALU_CYCLE_1)
	s_xor_b64 s[6:7], s[6:7], s[4:5]
	s_cvt_f32_u32 s8, s6
	s_cvt_f32_u32 s9, s7
	s_sub_nc_u64 s[22:23], 0, s[6:7]
	s_delay_alu instid0(SALU_CYCLE_2) | instskip(NEXT) | instid1(SALU_CYCLE_3)
	s_fmamk_f32 s8, s9, 0x4f800000, s8
	v_s_rcp_f32 s8, s8
	s_delay_alu instid0(TRANS32_DEP_1) | instskip(SKIP_1) | instid1(SALU_CYCLE_2)
	s_mul_f32 s8, s8, 0x5f7ffffc
	s_wait_alu 0xfffe
	s_mul_f32 s9, s8, 0x2f800000
	s_wait_alu 0xfffe
	s_delay_alu instid0(SALU_CYCLE_2) | instskip(SKIP_1) | instid1(SALU_CYCLE_2)
	s_trunc_f32 s9, s9
	s_wait_alu 0xfffe
	s_fmamk_f32 s8, s9, 0xcf800000, s8
	s_cvt_u32_f32 s11, s9
	s_mov_b32 s9, 0
	s_wait_alu 0xfffe
	s_cvt_u32_f32 s10, s8
	s_delay_alu instid0(SALU_CYCLE_3) | instskip(NEXT) | instid1(SALU_CYCLE_1)
	s_mul_u64 s[24:25], s[22:23], s[10:11]
	s_mul_hi_u32 s27, s10, s25
	s_mul_i32 s26, s10, s25
	s_mul_hi_u32 s8, s10, s24
	s_mul_i32 s29, s11, s24
	s_wait_alu 0xfffe
	s_add_nc_u64 s[26:27], s[8:9], s[26:27]
	s_mul_hi_u32 s28, s11, s24
	s_mul_hi_u32 s30, s11, s25
	s_add_co_u32 s8, s26, s29
	s_add_co_ci_u32 s8, s27, s28
	s_mul_i32 s24, s11, s25
	s_add_co_ci_u32 s25, s30, 0
	s_wait_alu 0xfffe
	s_add_nc_u64 s[24:25], s[8:9], s[24:25]
	s_delay_alu instid0(SALU_CYCLE_1) | instskip(SKIP_4) | instid1(SALU_CYCLE_1)
	s_add_co_u32 s10, s10, s24
	s_cselect_b32 s8, -1, 0
	s_wait_alu 0xfffe
	s_cmp_lg_u32 s8, 0
	s_add_co_ci_u32 s11, s11, s25
	s_mul_u64 s[22:23], s[22:23], s[10:11]
	s_delay_alu instid0(SALU_CYCLE_1)
	s_mul_hi_u32 s25, s10, s23
	s_mul_i32 s24, s10, s23
	s_mul_hi_u32 s8, s10, s22
	s_mul_i32 s27, s11, s22
	s_wait_alu 0xfffe
	s_add_nc_u64 s[24:25], s[8:9], s[24:25]
	s_mul_hi_u32 s26, s11, s22
	s_mul_hi_u32 s28, s11, s23
	s_add_co_u32 s8, s24, s27
	s_add_co_ci_u32 s8, s25, s26
	s_mul_i32 s22, s11, s23
	s_add_co_ci_u32 s23, s28, 0
	s_wait_alu 0xfffe
	s_add_nc_u64 s[22:23], s[8:9], s[22:23]
	s_delay_alu instid0(SALU_CYCLE_1)
	s_add_co_u32 s26, s10, s22
	s_cselect_b32 s8, -1, 0
	s_wait_alu 0xfffe
	s_cmp_lg_u32 s8, 0
	s_add_co_ci_u32 s27, s11, s23
	s_ashr_i32 s10, s19, 31
	s_delay_alu instid0(SALU_CYCLE_1) | instskip(NEXT) | instid1(SALU_CYCLE_1)
	s_mov_b32 s11, s10
	s_add_nc_u64 s[22:23], s[18:19], s[10:11]
	s_delay_alu instid0(SALU_CYCLE_1) | instskip(NEXT) | instid1(SALU_CYCLE_1)
	s_xor_b64 s[22:23], s[22:23], s[10:11]
	s_mul_hi_u32 s25, s22, s27
	s_mul_i32 s24, s22, s27
	s_mul_hi_u32 s8, s22, s26
	s_mul_i32 s30, s23, s26
	s_wait_alu 0xfffe
	s_add_nc_u64 s[24:25], s[8:9], s[24:25]
	s_mul_hi_u32 s29, s23, s26
	s_mul_hi_u32 s28, s23, s27
	s_add_co_u32 s8, s24, s30
	s_add_co_ci_u32 s8, s25, s29
	s_mul_i32 s26, s23, s27
	s_add_co_ci_u32 s27, s28, 0
	s_wait_alu 0xfffe
	s_add_nc_u64 s[24:25], s[8:9], s[26:27]
	s_delay_alu instid0(SALU_CYCLE_1) | instskip(NEXT) | instid1(SALU_CYCLE_1)
	s_mul_u64 s[26:27], s[6:7], s[24:25]
	s_sub_co_u32 s8, s22, s26
	s_cselect_b32 s22, -1, 0
	s_sub_co_i32 s26, s23, s27
	s_cmp_lg_u32 s22, 0
	s_sub_co_ci_u32 s26, s26, s7
	s_wait_alu 0xfffe
	s_sub_co_u32 s28, s8, s6
	s_cselect_b32 s29, -1, 0
	s_delay_alu instid0(SALU_CYCLE_1) | instskip(SKIP_1) | instid1(SALU_CYCLE_1)
	s_cmp_lg_u32 s29, 0
	s_sub_co_ci_u32 s26, s26, 0
	s_cmp_ge_u32 s26, s7
	s_cselect_b32 s30, -1, 0
	s_cmp_ge_u32 s28, s6
	s_add_nc_u64 s[28:29], s[24:25], 1
	s_cselect_b32 s31, -1, 0
	s_cmp_eq_u32 s26, s7
	s_cselect_b32 s26, s31, s30
	s_add_nc_u64 s[30:31], s[24:25], 2
	s_cmp_lg_u32 s26, 0
	s_cselect_b32 s26, s30, s28
	s_cselect_b32 s28, s31, s29
	s_cmp_lg_u32 s22, 0
	s_sub_co_ci_u32 s22, s23, s27
	s_delay_alu instid0(SALU_CYCLE_1)
	s_cmp_ge_u32 s22, s7
	s_cselect_b32 s23, -1, 0
	s_cmp_ge_u32 s8, s6
	s_cselect_b32 s6, -1, 0
	s_cmp_eq_u32 s22, s7
	s_cselect_b32 s6, s6, s23
	s_delay_alu instid0(SALU_CYCLE_1) | instskip(SKIP_3) | instid1(SALU_CYCLE_1)
	s_cmp_lg_u32 s6, 0
	s_cselect_b32 s7, s28, s25
	s_cselect_b32 s6, s26, s24
	s_xor_b64 s[4:5], s[10:11], s[4:5]
	s_xor_b64 s[6:7], s[6:7], s[4:5]
	s_delay_alu instid0(SALU_CYCLE_1)
	s_sub_nc_u64 s[22:23], s[6:7], s[4:5]
	s_cbranch_execnz .LBB10_4
.LBB10_3:
	v_cvt_f32_u32_e32 v1, s20
	s_sub_co_i32 s5, 0, s20
	s_mov_b32 s23, 0
	s_delay_alu instid0(VALU_DEP_1) | instskip(NEXT) | instid1(TRANS32_DEP_1)
	v_rcp_iflag_f32_e32 v1, v1
	v_mul_f32_e32 v1, 0x4f7ffffe, v1
	s_delay_alu instid0(VALU_DEP_1) | instskip(NEXT) | instid1(VALU_DEP_1)
	v_cvt_u32_f32_e32 v1, v1
	v_readfirstlane_b32 s4, v1
	s_mul_i32 s5, s5, s4
	s_delay_alu instid0(SALU_CYCLE_1) | instskip(NEXT) | instid1(SALU_CYCLE_1)
	s_mul_hi_u32 s5, s4, s5
	s_add_co_i32 s4, s4, s5
	s_delay_alu instid0(SALU_CYCLE_1) | instskip(NEXT) | instid1(SALU_CYCLE_1)
	s_mul_hi_u32 s4, s18, s4
	s_mul_i32 s5, s4, s20
	s_add_co_i32 s6, s4, 1
	s_sub_co_i32 s5, s18, s5
	s_delay_alu instid0(SALU_CYCLE_1)
	s_sub_co_i32 s7, s5, s20
	s_cmp_ge_u32 s5, s20
	s_cselect_b32 s4, s6, s4
	s_cselect_b32 s5, s7, s5
	s_add_co_i32 s6, s4, 1
	s_cmp_ge_u32 s5, s20
	s_cselect_b32 s22, s6, s4
.LBB10_4:
	s_mul_i32 s24, s15, s14
	s_mov_b32 s4, exec_lo
	v_cmpx_gt_i32_e64 s24, v0
	s_cbranch_execz .LBB10_7
; %bb.5:
	s_abs_i32 s25, s3
	s_load_b256 s[4:11], s[0:1], 0x0
	s_cvt_f32_u32 s30, s25
	s_load_b32 s0, s[0:1], 0x5c
	s_ashr_i32 s29, s12, 31
	s_mov_b32 s28, s12
	v_rcp_iflag_f32_e32 v1, s30
	s_ashr_i32 s31, s13, 31
	s_mov_b32 s30, s13
	s_mul_u64 s[28:29], s[28:29], s[16:17]
	s_wait_alu 0xfffe
	s_mul_u64 s[16:17], s[30:31], s[16:17]
	s_sub_co_i32 s31, 0, s25
	s_ashr_i32 s35, s14, 31
	s_mov_b32 s34, s14
	s_abs_i32 s14, s15
	s_mul_u64 s[26:27], s[22:23], s[20:21]
	v_readfirstlane_b32 s33, v1
	s_cvt_f32_u32 s30, s14
	s_sub_nc_u64 s[18:19], s[18:19], s[26:27]
	s_mul_u64 s[26:27], s[26:27], s[34:35]
	s_ashr_i32 s21, s3, 31
	s_mul_f32 s1, s33, 0x4f7ffffe
	s_mov_b32 s20, s3
	s_wait_alu 0xfffe
	v_rcp_iflag_f32_e32 v1, s30
	s_ashr_i32 s13, s15, 31
	s_cvt_u32_f32 s1, s1
	s_mov_b32 s12, s15
	s_xor_b32 s33, s13, s21
	s_mul_i32 s23, s3, s2
	s_mul_i32 s31, s31, s1
	s_mov_b32 s22, 0
	s_wait_alu 0xfffe
	s_mul_hi_u32 s34, s1, s31
	s_mul_u64 s[30:31], s[26:27], s[20:21]
	s_add_co_i32 s1, s1, s34
	s_mul_u64 s[34:35], s[18:19], s[20:21]
	s_mul_hi_u32 s20, s14, s1
	s_mul_u64 s[26:27], s[26:27], s[12:13]
	s_wait_alu 0xfffe
	s_mul_i32 s12, s20, s25
	s_add_co_i32 s37, s20, 1
	s_sub_co_i32 s12, s14, s12
	v_readfirstlane_b32 s36, v1
	s_sub_co_i32 s38, s12, s25
	s_cmp_ge_u32 s12, s25
	s_cselect_b32 s20, s37, s20
	s_cselect_b32 s12, s38, s12
	s_wait_alu 0xfffe
	s_add_co_i32 s37, s20, 1
	s_cmp_ge_u32 s12, s25
	s_mul_f32 s36, s36, 0x4f7ffffe
	s_cselect_b32 s12, s37, s20
	s_lshl_b64 s[28:29], s[28:29], 1
	s_xor_b32 s12, s12, s33
	s_cvt_u32_f32 s38, s36
	s_sub_co_i32 s36, s12, s33
	s_lshl_b64 s[16:17], s[16:17], 1
	s_ashr_i32 s37, s36, 31
	s_wait_kmcnt 0x0
	s_add_nc_u64 s[4:5], s[4:5], s[28:29]
	s_mul_u64 s[28:29], s[30:31], s[36:37]
	s_sub_co_i32 s20, 0, s14
	s_add_nc_u64 s[6:7], s[6:7], s[16:17]
	s_lshl_b64 s[16:17], s[28:29], 1
	s_wait_alu 0xfffe
	s_mul_i32 s20, s20, s38
	s_add_nc_u64 s[8:9], s[8:9], s[16:17]
	s_lshl_b64 s[16:17], s[26:27], 1
	s_mul_i32 s12, s23, s36
	s_add_nc_u64 s[10:11], s[10:11], s[16:17]
	s_wait_alu 0xfffe
	s_mul_hi_u32 s16, s38, s20
	s_and_b32 s20, s0, 0xffff
	s_add_co_i32 s26, s38, s16
	s_sub_co_i32 s27, 0, s15
	s_sub_co_i32 s3, 0, s3
	s_lshl_b64 s[16:17], s[34:35], 1
	s_lshl_b64 s[18:19], s[18:19], 1
.LBB10_6:                               ; =>This Inner Loop Header: Depth=1
	v_ashrrev_i32_e32 v1, 31, v0
	s_delay_alu instid0(VALU_DEP_1) | instskip(NEXT) | instid1(VALU_DEP_1)
	v_lshlrev_b64_e32 v[2:3], 1, v[0:1]
	v_add_co_u32 v4, vcc_lo, s4, v2
	s_wait_alu 0xfffd
	s_delay_alu instid0(VALU_DEP_2)
	v_add_co_ci_u32_e64 v5, null, s5, v3, vcc_lo
	v_add_co_u32 v2, vcc_lo, s6, v2
	s_wait_alu 0xfffd
	v_add_co_ci_u32_e64 v3, null, s7, v3, vcc_lo
	global_load_u16 v10, v[4:5], off
	global_load_u16 v11, v[2:3], off
	v_sub_nc_u32_e32 v2, 0, v0
	s_delay_alu instid0(VALU_DEP_1) | instskip(NEXT) | instid1(VALU_DEP_1)
	v_max_i32_e32 v2, v0, v2
	v_mul_hi_u32 v3, v2, s26
	s_delay_alu instid0(VALU_DEP_1) | instskip(NEXT) | instid1(VALU_DEP_1)
	v_mul_lo_u32 v4, v3, s14
	v_sub_nc_u32_e32 v2, v2, v4
	v_add_nc_u32_e32 v4, 1, v3
	s_delay_alu instid0(VALU_DEP_2) | instskip(SKIP_2) | instid1(VALU_DEP_2)
	v_subrev_nc_u32_e32 v5, s14, v2
	v_cmp_le_u32_e32 vcc_lo, s14, v2
	s_wait_alu 0xfffd
	v_dual_cndmask_b32 v3, v3, v4 :: v_dual_cndmask_b32 v2, v2, v5
	v_xor_b32_e32 v5, s13, v1
	s_delay_alu instid0(VALU_DEP_2) | instskip(NEXT) | instid1(VALU_DEP_3)
	v_add_nc_u32_e32 v4, 1, v3
	v_cmp_le_u32_e32 vcc_lo, s14, v2
	s_wait_alu 0xfffd
	s_delay_alu instid0(VALU_DEP_2) | instskip(NEXT) | instid1(VALU_DEP_1)
	v_cndmask_b32_e32 v2, v3, v4, vcc_lo
	v_xor_b32_e32 v2, v2, v5
	s_delay_alu instid0(VALU_DEP_1) | instskip(NEXT) | instid1(VALU_DEP_1)
	v_sub_nc_u32_e32 v3, v2, v5
	v_mad_co_u64_u32 v[1:2], null, s27, v3, v[0:1]
	v_mul_lo_u32 v4, v3, s15
	s_delay_alu instid0(VALU_DEP_2) | instskip(NEXT) | instid1(VALU_DEP_1)
	v_ashrrev_i32_e32 v5, 31, v1
	v_sub_nc_u32_e32 v2, v5, v4
	v_mul_lo_u32 v4, v4, s2
	s_delay_alu instid0(VALU_DEP_2) | instskip(SKIP_2) | instid1(VALU_DEP_2)
	v_add_nc_u32_e32 v2, v0, v2
	s_wait_alu 0xfffe
	v_add_nc_u32_e32 v0, s20, v0
	v_xor_b32_e32 v2, v2, v5
	v_xor_b32_e32 v5, s21, v5
	s_delay_alu instid0(VALU_DEP_2) | instskip(NEXT) | instid1(VALU_DEP_1)
	v_mul_hi_u32 v6, v2, s1
	v_mul_lo_u32 v7, v6, s25
	s_delay_alu instid0(VALU_DEP_1) | instskip(SKIP_1) | instid1(VALU_DEP_2)
	v_sub_nc_u32_e32 v2, v2, v7
	v_add_nc_u32_e32 v7, 1, v6
	v_subrev_nc_u32_e32 v8, s25, v2
	v_cmp_le_u32_e32 vcc_lo, s25, v2
	s_wait_alu 0xfffd
	s_delay_alu instid0(VALU_DEP_3) | instskip(NEXT) | instid1(VALU_DEP_3)
	v_cndmask_b32_e32 v6, v6, v7, vcc_lo
	v_cndmask_b32_e32 v7, v2, v8, vcc_lo
	v_mul_lo_u32 v2, s12, v3
	s_delay_alu instid0(VALU_DEP_3) | instskip(NEXT) | instid1(VALU_DEP_3)
	v_add_nc_u32_e32 v8, 1, v6
	v_cmp_le_u32_e32 vcc_lo, s25, v7
	s_wait_alu 0xfffd
	s_delay_alu instid0(VALU_DEP_2) | instskip(SKIP_1) | instid1(VALU_DEP_2)
	v_cndmask_b32_e32 v3, v6, v8, vcc_lo
	v_mul_lo_u32 v6, v1, s2
	v_xor_b32_e32 v7, v3, v5
	v_ashrrev_i32_e32 v3, 31, v2
	s_delay_alu instid0(VALU_DEP_2) | instskip(NEXT) | instid1(VALU_DEP_2)
	v_sub_nc_u32_e32 v12, v7, v5
	v_lshlrev_b64_e32 v[2:3], 1, v[2:3]
	v_ashrrev_i32_e32 v5, 31, v4
	v_ashrrev_i32_e32 v7, 31, v6
	s_delay_alu instid0(VALU_DEP_4) | instskip(NEXT) | instid1(VALU_DEP_4)
	v_mul_lo_u32 v8, s23, v12
	v_add_co_u32 v13, vcc_lo, s8, v2
	s_wait_alu 0xfffd
	v_add_co_ci_u32_e64 v14, null, s9, v3, vcc_lo
	v_lshlrev_b64_e32 v[2:3], 1, v[4:5]
	v_lshlrev_b64_e32 v[6:7], 1, v[6:7]
	v_ashrrev_i32_e32 v9, 31, v8
	v_cmp_le_i32_e32 vcc_lo, s24, v0
	s_delay_alu instid0(VALU_DEP_4) | instskip(NEXT) | instid1(VALU_DEP_3)
	v_mad_co_u64_u32 v[4:5], null, s3, v12, v[1:2]
	v_lshlrev_b64_e32 v[8:9], 1, v[8:9]
	v_add_co_u32 v12, s0, s10, v2
	s_wait_alu 0xf1ff
	v_add_co_ci_u32_e64 v3, null, s11, v3, s0
	s_or_b32 s22, vcc_lo, s22
	v_ashrrev_i32_e32 v5, 31, v4
	v_add_co_u32 v8, s0, v13, v8
	s_wait_alu 0xf1ff
	v_add_co_ci_u32_e64 v9, null, v14, v9, s0
	s_delay_alu instid0(VALU_DEP_3) | instskip(NEXT) | instid1(VALU_DEP_3)
	v_lshlrev_b64_e32 v[1:2], 1, v[4:5]
	v_add_co_u32 v4, s0, v8, s16
	s_wait_alu 0xf1ff
	s_delay_alu instid0(VALU_DEP_3)
	v_add_co_ci_u32_e64 v5, null, s17, v9, s0
	v_add_co_u32 v6, s0, v12, v6
	s_wait_alu 0xf1ff
	v_add_co_ci_u32_e64 v7, null, v3, v7, s0
	v_add_co_u32 v1, s0, v4, v1
	s_wait_alu 0xf1ff
	;; [unrolled: 3-line block ×3, first 2 shown]
	v_add_co_ci_u32_e64 v4, null, s19, v7, s0
	s_wait_loadcnt 0x1
	global_store_b16 v[1:2], v10, off
	s_wait_loadcnt 0x0
	global_store_b16 v[3:4], v11, off
	s_wait_alu 0xfffe
	s_and_not1_b32 exec_lo, exec_lo, s22
	s_cbranch_execnz .LBB10_6
.LBB10_7:
	s_endpgm
.LBB10_8:
                                        ; implicit-def: $sgpr22_sgpr23
	s_branch .LBB10_3
	.section	.rodata,"a",@progbits
	.p2align	6, 0x0
	.amdhsa_kernel _ZN4vllm24reshape_and_cache_kernelI14__hip_bfloat16S1_LNS_18Fp8KVCacheDataTypeE0EEEvPKT_S5_PT0_S7_PKliiiiiiPKfSB_
		.amdhsa_group_segment_fixed_size 0
		.amdhsa_private_segment_fixed_size 0
		.amdhsa_kernarg_size 336
		.amdhsa_user_sgpr_count 2
		.amdhsa_user_sgpr_dispatch_ptr 0
		.amdhsa_user_sgpr_queue_ptr 0
		.amdhsa_user_sgpr_kernarg_segment_ptr 1
		.amdhsa_user_sgpr_dispatch_id 0
		.amdhsa_user_sgpr_private_segment_size 0
		.amdhsa_wavefront_size32 1
		.amdhsa_uses_dynamic_stack 0
		.amdhsa_enable_private_segment 0
		.amdhsa_system_sgpr_workgroup_id_x 1
		.amdhsa_system_sgpr_workgroup_id_y 0
		.amdhsa_system_sgpr_workgroup_id_z 0
		.amdhsa_system_sgpr_workgroup_info 0
		.amdhsa_system_vgpr_workitem_id 0
		.amdhsa_next_free_vgpr 15
		.amdhsa_next_free_sgpr 39
		.amdhsa_reserve_vcc 1
		.amdhsa_float_round_mode_32 0
		.amdhsa_float_round_mode_16_64 0
		.amdhsa_float_denorm_mode_32 3
		.amdhsa_float_denorm_mode_16_64 3
		.amdhsa_fp16_overflow 0
		.amdhsa_workgroup_processor_mode 1
		.amdhsa_memory_ordered 1
		.amdhsa_forward_progress 1
		.amdhsa_inst_pref_size 14
		.amdhsa_round_robin_scheduling 0
		.amdhsa_exception_fp_ieee_invalid_op 0
		.amdhsa_exception_fp_denorm_src 0
		.amdhsa_exception_fp_ieee_div_zero 0
		.amdhsa_exception_fp_ieee_overflow 0
		.amdhsa_exception_fp_ieee_underflow 0
		.amdhsa_exception_fp_ieee_inexact 0
		.amdhsa_exception_int_div_zero 0
	.end_amdhsa_kernel
	.section	.text._ZN4vllm24reshape_and_cache_kernelI14__hip_bfloat16S1_LNS_18Fp8KVCacheDataTypeE0EEEvPKT_S5_PT0_S7_PKliiiiiiPKfSB_,"axG",@progbits,_ZN4vllm24reshape_and_cache_kernelI14__hip_bfloat16S1_LNS_18Fp8KVCacheDataTypeE0EEEvPKT_S5_PT0_S7_PKliiiiiiPKfSB_,comdat
.Lfunc_end10:
	.size	_ZN4vllm24reshape_and_cache_kernelI14__hip_bfloat16S1_LNS_18Fp8KVCacheDataTypeE0EEEvPKT_S5_PT0_S7_PKliiiiiiPKfSB_, .Lfunc_end10-_ZN4vllm24reshape_and_cache_kernelI14__hip_bfloat16S1_LNS_18Fp8KVCacheDataTypeE0EEEvPKT_S5_PT0_S7_PKliiiiiiPKfSB_
                                        ; -- End function
	.set _ZN4vllm24reshape_and_cache_kernelI14__hip_bfloat16S1_LNS_18Fp8KVCacheDataTypeE0EEEvPKT_S5_PT0_S7_PKliiiiiiPKfSB_.num_vgpr, 15
	.set _ZN4vllm24reshape_and_cache_kernelI14__hip_bfloat16S1_LNS_18Fp8KVCacheDataTypeE0EEEvPKT_S5_PT0_S7_PKliiiiiiPKfSB_.num_agpr, 0
	.set _ZN4vllm24reshape_and_cache_kernelI14__hip_bfloat16S1_LNS_18Fp8KVCacheDataTypeE0EEEvPKT_S5_PT0_S7_PKliiiiiiPKfSB_.numbered_sgpr, 39
	.set _ZN4vllm24reshape_and_cache_kernelI14__hip_bfloat16S1_LNS_18Fp8KVCacheDataTypeE0EEEvPKT_S5_PT0_S7_PKliiiiiiPKfSB_.num_named_barrier, 0
	.set _ZN4vllm24reshape_and_cache_kernelI14__hip_bfloat16S1_LNS_18Fp8KVCacheDataTypeE0EEEvPKT_S5_PT0_S7_PKliiiiiiPKfSB_.private_seg_size, 0
	.set _ZN4vllm24reshape_and_cache_kernelI14__hip_bfloat16S1_LNS_18Fp8KVCacheDataTypeE0EEEvPKT_S5_PT0_S7_PKliiiiiiPKfSB_.uses_vcc, 1
	.set _ZN4vllm24reshape_and_cache_kernelI14__hip_bfloat16S1_LNS_18Fp8KVCacheDataTypeE0EEEvPKT_S5_PT0_S7_PKliiiiiiPKfSB_.uses_flat_scratch, 0
	.set _ZN4vllm24reshape_and_cache_kernelI14__hip_bfloat16S1_LNS_18Fp8KVCacheDataTypeE0EEEvPKT_S5_PT0_S7_PKliiiiiiPKfSB_.has_dyn_sized_stack, 0
	.set _ZN4vllm24reshape_and_cache_kernelI14__hip_bfloat16S1_LNS_18Fp8KVCacheDataTypeE0EEEvPKT_S5_PT0_S7_PKliiiiiiPKfSB_.has_recursion, 0
	.set _ZN4vllm24reshape_and_cache_kernelI14__hip_bfloat16S1_LNS_18Fp8KVCacheDataTypeE0EEEvPKT_S5_PT0_S7_PKliiiiiiPKfSB_.has_indirect_call, 0
	.section	.AMDGPU.csdata,"",@progbits
; Kernel info:
; codeLenInByte = 1748
; TotalNumSgprs: 41
; NumVgprs: 15
; ScratchSize: 0
; MemoryBound: 0
; FloatMode: 240
; IeeeMode: 1
; LDSByteSize: 0 bytes/workgroup (compile time only)
; SGPRBlocks: 0
; VGPRBlocks: 1
; NumSGPRsForWavesPerEU: 41
; NumVGPRsForWavesPerEU: 15
; Occupancy: 16
; WaveLimiterHint : 1
; COMPUTE_PGM_RSRC2:SCRATCH_EN: 0
; COMPUTE_PGM_RSRC2:USER_SGPR: 2
; COMPUTE_PGM_RSRC2:TRAP_HANDLER: 0
; COMPUTE_PGM_RSRC2:TGID_X_EN: 1
; COMPUTE_PGM_RSRC2:TGID_Y_EN: 0
; COMPUTE_PGM_RSRC2:TGID_Z_EN: 0
; COMPUTE_PGM_RSRC2:TIDIG_COMP_CNT: 0
	.section	.text._ZN4vllm24reshape_and_cache_kernelIfhLNS_18Fp8KVCacheDataTypeE1EEEvPKT_S4_PT0_S6_PKliiiiiiPKfSA_,"axG",@progbits,_ZN4vllm24reshape_and_cache_kernelIfhLNS_18Fp8KVCacheDataTypeE1EEEvPKT_S4_PT0_S6_PKliiiiiiPKfSA_,comdat
	.protected	_ZN4vllm24reshape_and_cache_kernelIfhLNS_18Fp8KVCacheDataTypeE1EEEvPKT_S4_PT0_S6_PKliiiiiiPKfSA_ ; -- Begin function _ZN4vllm24reshape_and_cache_kernelIfhLNS_18Fp8KVCacheDataTypeE1EEEvPKT_S4_PT0_S6_PKliiiiiiPKfSA_
	.globl	_ZN4vllm24reshape_and_cache_kernelIfhLNS_18Fp8KVCacheDataTypeE1EEEvPKT_S4_PT0_S6_PKliiiiiiPKfSA_
	.p2align	8
	.type	_ZN4vllm24reshape_and_cache_kernelIfhLNS_18Fp8KVCacheDataTypeE1EEEvPKT_S4_PT0_S6_PKliiiiiiPKfSA_,@function
_ZN4vllm24reshape_and_cache_kernelIfhLNS_18Fp8KVCacheDataTypeE1EEEvPKT_S4_PT0_S6_PKliiiiiiPKfSA_: ; @_ZN4vllm24reshape_and_cache_kernelIfhLNS_18Fp8KVCacheDataTypeE1EEEvPKT_S4_PT0_S6_PKliiiiiiPKfSA_
; %bb.0:
	s_load_b64 s[2:3], s[0:1], 0x20
	s_mov_b32 s18, ttmp9
	s_mov_b32 s19, 0
	s_delay_alu instid0(SALU_CYCLE_1)
	s_lshl_b64 s[4:5], s[18:19], 3
	s_wait_kmcnt 0x0
	s_add_nc_u64 s[2:3], s[2:3], s[4:5]
	s_load_b64 s[20:21], s[2:3], 0x0
	s_wait_kmcnt 0x0
	v_cmp_lt_i64_e64 s2, s[20:21], 0
	s_and_b32 vcc_lo, exec_lo, s2
	s_cbranch_vccnz .LBB11_7
; %bb.1:
	s_clause 0x1
	s_load_b64 s[2:3], s[0:1], 0x38
	s_load_b128 s[12:15], s[0:1], 0x28
	s_wait_kmcnt 0x0
	s_ashr_i32 s17, s2, 31
	s_mov_b32 s16, s2
	s_delay_alu instid0(SALU_CYCLE_1) | instskip(SKIP_1) | instid1(SALU_CYCLE_1)
	s_or_b64 s[4:5], s[20:21], s[16:17]
	s_mov_b32 s4, s19
	s_cmp_lg_u64 s[4:5], 0
	s_cbranch_scc0 .LBB11_8
; %bb.2:
	s_ashr_i32 s4, s17, 31
	s_delay_alu instid0(SALU_CYCLE_1) | instskip(NEXT) | instid1(SALU_CYCLE_1)
	s_mov_b32 s5, s4
	s_add_nc_u64 s[6:7], s[16:17], s[4:5]
	s_delay_alu instid0(SALU_CYCLE_1) | instskip(NEXT) | instid1(SALU_CYCLE_1)
	s_xor_b64 s[6:7], s[6:7], s[4:5]
	s_cvt_f32_u32 s8, s6
	s_cvt_f32_u32 s9, s7
	s_sub_nc_u64 s[22:23], 0, s[6:7]
	s_delay_alu instid0(SALU_CYCLE_2) | instskip(NEXT) | instid1(SALU_CYCLE_3)
	s_fmamk_f32 s8, s9, 0x4f800000, s8
	v_s_rcp_f32 s8, s8
	s_delay_alu instid0(TRANS32_DEP_1) | instskip(SKIP_1) | instid1(SALU_CYCLE_2)
	s_mul_f32 s8, s8, 0x5f7ffffc
	s_wait_alu 0xfffe
	s_mul_f32 s9, s8, 0x2f800000
	s_wait_alu 0xfffe
	s_delay_alu instid0(SALU_CYCLE_2) | instskip(SKIP_1) | instid1(SALU_CYCLE_2)
	s_trunc_f32 s9, s9
	s_wait_alu 0xfffe
	s_fmamk_f32 s8, s9, 0xcf800000, s8
	s_cvt_u32_f32 s11, s9
	s_mov_b32 s9, 0
	s_wait_alu 0xfffe
	s_cvt_u32_f32 s10, s8
	s_delay_alu instid0(SALU_CYCLE_3) | instskip(NEXT) | instid1(SALU_CYCLE_1)
	s_mul_u64 s[24:25], s[22:23], s[10:11]
	s_mul_hi_u32 s27, s10, s25
	s_mul_i32 s26, s10, s25
	s_mul_hi_u32 s8, s10, s24
	s_mul_i32 s29, s11, s24
	s_wait_alu 0xfffe
	s_add_nc_u64 s[26:27], s[8:9], s[26:27]
	s_mul_hi_u32 s28, s11, s24
	s_mul_hi_u32 s30, s11, s25
	s_add_co_u32 s8, s26, s29
	s_add_co_ci_u32 s8, s27, s28
	s_mul_i32 s24, s11, s25
	s_add_co_ci_u32 s25, s30, 0
	s_wait_alu 0xfffe
	s_add_nc_u64 s[24:25], s[8:9], s[24:25]
	s_delay_alu instid0(SALU_CYCLE_1) | instskip(SKIP_4) | instid1(SALU_CYCLE_1)
	s_add_co_u32 s10, s10, s24
	s_cselect_b32 s8, -1, 0
	s_wait_alu 0xfffe
	s_cmp_lg_u32 s8, 0
	s_add_co_ci_u32 s11, s11, s25
	s_mul_u64 s[22:23], s[22:23], s[10:11]
	s_delay_alu instid0(SALU_CYCLE_1)
	s_mul_hi_u32 s25, s10, s23
	s_mul_i32 s24, s10, s23
	s_mul_hi_u32 s8, s10, s22
	s_mul_i32 s27, s11, s22
	s_wait_alu 0xfffe
	s_add_nc_u64 s[24:25], s[8:9], s[24:25]
	s_mul_hi_u32 s26, s11, s22
	s_mul_hi_u32 s28, s11, s23
	s_add_co_u32 s8, s24, s27
	s_add_co_ci_u32 s8, s25, s26
	s_mul_i32 s22, s11, s23
	s_add_co_ci_u32 s23, s28, 0
	s_wait_alu 0xfffe
	s_add_nc_u64 s[22:23], s[8:9], s[22:23]
	s_delay_alu instid0(SALU_CYCLE_1)
	s_add_co_u32 s26, s10, s22
	s_cselect_b32 s8, -1, 0
	s_wait_alu 0xfffe
	s_cmp_lg_u32 s8, 0
	s_add_co_ci_u32 s27, s11, s23
	s_ashr_i32 s10, s21, 31
	s_delay_alu instid0(SALU_CYCLE_1) | instskip(NEXT) | instid1(SALU_CYCLE_1)
	s_mov_b32 s11, s10
	s_add_nc_u64 s[22:23], s[20:21], s[10:11]
	s_delay_alu instid0(SALU_CYCLE_1) | instskip(NEXT) | instid1(SALU_CYCLE_1)
	s_xor_b64 s[22:23], s[22:23], s[10:11]
	s_mul_hi_u32 s25, s22, s27
	s_mul_i32 s24, s22, s27
	s_mul_hi_u32 s8, s22, s26
	s_mul_i32 s30, s23, s26
	s_wait_alu 0xfffe
	s_add_nc_u64 s[24:25], s[8:9], s[24:25]
	s_mul_hi_u32 s29, s23, s26
	s_mul_hi_u32 s28, s23, s27
	s_add_co_u32 s8, s24, s30
	s_add_co_ci_u32 s8, s25, s29
	s_mul_i32 s26, s23, s27
	s_add_co_ci_u32 s27, s28, 0
	s_wait_alu 0xfffe
	s_add_nc_u64 s[24:25], s[8:9], s[26:27]
	s_delay_alu instid0(SALU_CYCLE_1) | instskip(NEXT) | instid1(SALU_CYCLE_1)
	s_mul_u64 s[26:27], s[6:7], s[24:25]
	s_sub_co_u32 s8, s22, s26
	s_cselect_b32 s22, -1, 0
	s_sub_co_i32 s26, s23, s27
	s_cmp_lg_u32 s22, 0
	s_sub_co_ci_u32 s26, s26, s7
	s_wait_alu 0xfffe
	s_sub_co_u32 s28, s8, s6
	s_cselect_b32 s29, -1, 0
	s_delay_alu instid0(SALU_CYCLE_1) | instskip(SKIP_1) | instid1(SALU_CYCLE_1)
	s_cmp_lg_u32 s29, 0
	s_sub_co_ci_u32 s26, s26, 0
	s_cmp_ge_u32 s26, s7
	s_cselect_b32 s30, -1, 0
	s_cmp_ge_u32 s28, s6
	s_add_nc_u64 s[28:29], s[24:25], 1
	s_cselect_b32 s31, -1, 0
	s_cmp_eq_u32 s26, s7
	s_cselect_b32 s26, s31, s30
	s_add_nc_u64 s[30:31], s[24:25], 2
	s_cmp_lg_u32 s26, 0
	s_cselect_b32 s26, s30, s28
	s_cselect_b32 s28, s31, s29
	s_cmp_lg_u32 s22, 0
	s_sub_co_ci_u32 s22, s23, s27
	s_delay_alu instid0(SALU_CYCLE_1)
	s_cmp_ge_u32 s22, s7
	s_cselect_b32 s23, -1, 0
	s_cmp_ge_u32 s8, s6
	s_cselect_b32 s6, -1, 0
	s_cmp_eq_u32 s22, s7
	s_cselect_b32 s6, s6, s23
	s_delay_alu instid0(SALU_CYCLE_1) | instskip(SKIP_3) | instid1(SALU_CYCLE_1)
	s_cmp_lg_u32 s6, 0
	s_cselect_b32 s7, s28, s25
	s_cselect_b32 s6, s26, s24
	s_xor_b64 s[4:5], s[10:11], s[4:5]
	s_xor_b64 s[6:7], s[6:7], s[4:5]
	s_delay_alu instid0(SALU_CYCLE_1)
	s_sub_nc_u64 s[22:23], s[6:7], s[4:5]
	s_cbranch_execnz .LBB11_4
.LBB11_3:
	v_cvt_f32_u32_e32 v1, s16
	s_sub_co_i32 s5, 0, s16
	s_mov_b32 s23, 0
	s_delay_alu instid0(VALU_DEP_1) | instskip(NEXT) | instid1(TRANS32_DEP_1)
	v_rcp_iflag_f32_e32 v1, v1
	v_mul_f32_e32 v1, 0x4f7ffffe, v1
	s_delay_alu instid0(VALU_DEP_1) | instskip(NEXT) | instid1(VALU_DEP_1)
	v_cvt_u32_f32_e32 v1, v1
	v_readfirstlane_b32 s4, v1
	s_mul_i32 s5, s5, s4
	s_delay_alu instid0(SALU_CYCLE_1) | instskip(NEXT) | instid1(SALU_CYCLE_1)
	s_mul_hi_u32 s5, s4, s5
	s_add_co_i32 s4, s4, s5
	s_delay_alu instid0(SALU_CYCLE_1) | instskip(NEXT) | instid1(SALU_CYCLE_1)
	s_mul_hi_u32 s4, s20, s4
	s_mul_i32 s5, s4, s16
	s_add_co_i32 s6, s4, 1
	s_sub_co_i32 s5, s20, s5
	s_delay_alu instid0(SALU_CYCLE_1)
	s_sub_co_i32 s7, s5, s16
	s_cmp_ge_u32 s5, s16
	s_cselect_b32 s4, s6, s4
	s_cselect_b32 s5, s7, s5
	s_add_co_i32 s6, s4, 1
	s_cmp_ge_u32 s5, s16
	s_cselect_b32 s22, s6, s4
.LBB11_4:
	s_mul_i32 s24, s15, s14
	s_mov_b32 s4, exec_lo
	v_cmpx_gt_i32_e64 s24, v0
	s_cbranch_execz .LBB11_7
; %bb.5:
	s_abs_i32 s25, s3
	s_ashr_i32 s35, s12, 31
	s_wait_alu 0xfffe
	s_cvt_f32_u32 s28, s25
	s_mov_b32 s34, s12
	s_ashr_i32 s37, s13, 31
	s_mov_b32 s36, s13
	v_rcp_iflag_f32_e32 v1, s28
	s_clause 0x2
	s_load_b256 s[4:11], s[0:1], 0x0
	s_load_b128 s[28:31], s[0:1], 0x40
	s_load_b32 s40, s[0:1], 0x5c
	s_mul_u64 s[0:1], s[34:35], s[18:19]
	s_mul_u64 s[34:35], s[36:37], s[18:19]
	s_sub_co_i32 s19, 0, s25
	s_mul_u64 s[26:27], s[22:23], s[16:17]
	s_ashr_i32 s39, s14, 31
	s_mov_b32 s38, s14
	s_abs_i32 s14, s15
	v_readfirstlane_b32 s33, v1
	s_sub_nc_u64 s[20:21], s[20:21], s[26:27]
	s_mul_u64 s[36:37], s[26:27], s[38:39]
	s_ashr_i32 s17, s3, 31
	s_mov_b32 s16, s3
	s_mul_f32 s33, s33, 0x4f7ffffe
	s_cvt_f32_u32 s41, s14
	s_ashr_i32 s13, s15, 31
	s_mov_b32 s12, s15
	s_cvt_u32_f32 s18, s33
	s_wait_alu 0xfffe
	s_mul_u64 s[38:39], s[36:37], s[16:17]
	s_mul_u64 s[36:37], s[36:37], s[12:13]
	v_rcp_iflag_f32_e32 v1, s41
	s_mul_i32 s19, s19, s18
	s_xor_b32 s33, s13, s17
	s_mul_hi_u32 s19, s18, s19
	s_mul_i32 s23, s3, s2
	s_add_co_i32 s26, s18, s19
	s_mul_u64 s[18:19], s[20:21], s[16:17]
	s_mul_hi_u32 s27, s14, s26
	s_mov_b32 s22, 0
	s_mul_i32 s16, s27, s25
	v_readfirstlane_b32 s42, v1
	s_wait_alu 0xfffe
	s_sub_co_i32 s12, s14, s16
	s_add_co_i32 s16, s27, 1
	s_sub_co_i32 s41, s12, s25
	s_cmp_ge_u32 s12, s25
	s_wait_kmcnt 0x0
	s_add_nc_u64 s[10:11], s[10:11], s[36:37]
	s_wait_alu 0xfffe
	s_cselect_b32 s16, s16, s27
	s_cselect_b32 s12, s41, s12
	s_wait_alu 0xfffe
	s_add_co_i32 s27, s16, 1
	s_cmp_ge_u32 s12, s25
	s_load_b32 s12, s[28:29], 0x0
	s_cselect_b32 s27, s27, s16
	s_load_b32 s16, s[30:31], 0x0
	s_mul_f32 s30, s42, 0x4f7ffffe
	s_lshl_b64 s[0:1], s[0:1], 2
	s_xor_b32 s27, s27, s33
	s_add_nc_u64 s[4:5], s[4:5], s[0:1]
	s_lshl_b64 s[0:1], s[34:35], 2
	s_cvt_u32_f32 s30, s30
	s_sub_co_i32 s28, s27, s33
	s_add_nc_u64 s[6:7], s[6:7], s[0:1]
	s_sub_co_i32 s0, 0, s14
	s_wait_alu 0xfffe
	s_ashr_i32 s29, s28, 31
	s_mul_i32 s0, s0, s30
	s_mul_i32 s27, s23, s28
	s_wait_alu 0xfffe
	s_mul_u64 s[28:29], s[38:39], s[28:29]
	s_mul_hi_u32 s0, s30, s0
	s_wait_alu 0xfffe
	s_add_nc_u64 s[8:9], s[8:9], s[28:29]
	s_and_b32 s28, s40, 0xffff
	s_add_co_i32 s29, s30, s0
	s_sub_co_i32 s30, 0, s15
	s_sub_co_i32 s3, 0, s3
	s_mov_b32 s31, 0x43e00000
.LBB11_6:                               ; =>This Inner Loop Header: Depth=1
	v_ashrrev_i32_e32 v1, 31, v0
	v_mov_b32_e32 v9, 0
	s_delay_alu instid0(VALU_DEP_2) | instskip(NEXT) | instid1(VALU_DEP_1)
	v_lshlrev_b64_e32 v[2:3], 2, v[0:1]
	v_add_co_u32 v4, vcc_lo, s4, v2
	s_wait_alu 0xfffd
	s_delay_alu instid0(VALU_DEP_2)
	v_add_co_ci_u32_e64 v5, null, s5, v3, vcc_lo
	v_add_co_u32 v2, vcc_lo, s6, v2
	s_wait_alu 0xfffd
	v_add_co_ci_u32_e64 v3, null, s7, v3, vcc_lo
	global_load_b32 v4, v[4:5], off
	global_load_b32 v3, v[2:3], off
	v_sub_nc_u32_e32 v2, 0, v0
	s_delay_alu instid0(VALU_DEP_1) | instskip(SKIP_1) | instid1(VALU_DEP_1)
	v_max_i32_e32 v2, v0, v2
	s_wait_alu 0xfffe
	v_mul_hi_u32 v5, v2, s29
	s_delay_alu instid0(VALU_DEP_1) | instskip(NEXT) | instid1(VALU_DEP_1)
	v_mul_lo_u32 v6, v5, s14
	v_sub_nc_u32_e32 v2, v2, v6
	v_add_nc_u32_e32 v6, 1, v5
	s_delay_alu instid0(VALU_DEP_2) | instskip(SKIP_2) | instid1(VALU_DEP_2)
	v_subrev_nc_u32_e32 v7, s14, v2
	v_cmp_le_u32_e32 vcc_lo, s14, v2
	s_wait_alu 0xfffd
	v_dual_cndmask_b32 v5, v5, v6 :: v_dual_cndmask_b32 v2, v2, v7
	v_xor_b32_e32 v7, s13, v1
	s_delay_alu instid0(VALU_DEP_2) | instskip(NEXT) | instid1(VALU_DEP_3)
	v_add_nc_u32_e32 v6, 1, v5
	v_cmp_le_u32_e32 vcc_lo, s14, v2
	s_wait_alu 0xfffd
	s_delay_alu instid0(VALU_DEP_2) | instskip(NEXT) | instid1(VALU_DEP_1)
	v_cndmask_b32_e32 v2, v5, v6, vcc_lo
	v_xor_b32_e32 v2, v2, v7
	s_delay_alu instid0(VALU_DEP_1) | instskip(NEXT) | instid1(VALU_DEP_1)
	v_sub_nc_u32_e32 v5, v2, v7
	v_mad_co_u64_u32 v[1:2], null, s30, v5, v[0:1]
	v_mul_lo_u32 v2, v5, s15
	v_mul_lo_u32 v5, s27, v5
	s_delay_alu instid0(VALU_DEP_3) | instskip(SKIP_1) | instid1(VALU_DEP_3)
	v_ashrrev_i32_e32 v6, 31, v1
	v_mul_lo_u32 v13, v1, s2
	v_ashrrev_i32_e32 v12, 31, v5
	v_add_co_u32 v5, s0, s8, v5
	s_delay_alu instid0(VALU_DEP_4) | instskip(SKIP_3) | instid1(VALU_DEP_3)
	v_sub_nc_u32_e32 v7, v6, v2
	v_mul_lo_u32 v2, v2, s2
	s_wait_alu 0xf1ff
	v_add_co_ci_u32_e64 v12, null, s9, v12, s0
	v_add_nc_u32_e32 v7, v0, v7
	s_delay_alu instid0(VALU_DEP_1) | instskip(SKIP_1) | instid1(VALU_DEP_2)
	v_xor_b32_e32 v7, v7, v6
	v_xor_b32_e32 v6, s17, v6
	v_mul_hi_u32 v8, v7, s26
	v_mov_b32_e32 v10, 0
	s_delay_alu instid0(VALU_DEP_2) | instskip(NEXT) | instid1(VALU_DEP_1)
	v_mul_lo_u32 v11, v8, s25
	v_sub_nc_u32_e32 v7, v7, v11
	v_add_nc_u32_e32 v11, 1, v8
	s_delay_alu instid0(VALU_DEP_2)
	v_cmp_le_u32_e32 vcc_lo, s25, v7
	s_wait_loadcnt 0x1
	s_wait_kmcnt 0x0
	v_div_scale_f32 v14, null, s12, s12, v4
	s_wait_loadcnt 0x0
	v_div_scale_f32 v15, null, s16, s16, v3
	v_div_scale_f32 v21, s0, v3, s16, v3
	s_delay_alu instid0(VALU_DEP_3) | instskip(NEXT) | instid1(VALU_DEP_2)
	v_rcp_f32_e32 v16, v14
	v_rcp_f32_e32 v17, v15
	s_delay_alu instid0(TRANS32_DEP_2) | instskip(NEXT) | instid1(TRANS32_DEP_1)
	v_fma_f32 v18, -v14, v16, 1.0
	v_fma_f32 v19, -v15, v17, 1.0
	s_wait_alu 0xfffd
	v_cndmask_b32_e32 v8, v8, v11, vcc_lo
	v_subrev_nc_u32_e32 v11, s25, v7
	s_delay_alu instid0(VALU_DEP_3) | instskip(NEXT) | instid1(VALU_DEP_2)
	v_dual_fmac_f32 v17, v19, v17 :: v_dual_fmac_f32 v16, v18, v16
	v_cndmask_b32_e32 v7, v7, v11, vcc_lo
	s_delay_alu instid0(VALU_DEP_4) | instskip(SKIP_2) | instid1(VALU_DEP_4)
	v_add_nc_u32_e32 v11, 1, v8
	v_div_scale_f32 v20, vcc_lo, v4, s12, v4
	v_ashrrev_i32_e32 v18, 31, v2
	v_cmp_le_u32_e64 s1, s25, v7
	v_ashrrev_i32_e32 v19, 31, v13
	s_wait_alu 0xf1ff
	s_delay_alu instid0(VALU_DEP_2) | instskip(SKIP_4) | instid1(VALU_DEP_3)
	v_cndmask_b32_e64 v7, v8, v11, s1
	v_mul_f32_e32 v11, v21, v17
	v_add_co_u32 v24, s1, s10, v2
	s_wait_alu 0xf1ff
	v_add_co_ci_u32_e64 v18, null, s11, v18, s1
	v_fma_f32 v23, -v15, v11, v21
	v_mul_f32_e32 v8, v20, v16
	v_xor_b32_e32 v7, v7, v6
	s_delay_alu instid0(VALU_DEP_3) | instskip(NEXT) | instid1(VALU_DEP_3)
	v_fmac_f32_e32 v11, v23, v17
	v_fma_f32 v22, -v14, v8, v20
	s_delay_alu instid0(VALU_DEP_3) | instskip(NEXT) | instid1(VALU_DEP_3)
	v_sub_nc_u32_e32 v6, v7, v6
	v_fma_f32 v7, -v15, v11, v21
	s_delay_alu instid0(VALU_DEP_3) | instskip(NEXT) | instid1(VALU_DEP_3)
	v_fmac_f32_e32 v8, v22, v16
	v_mad_co_u64_u32 v[1:2], null, s3, v6, v[1:2]
	v_mul_lo_u32 v6, s23, v6
	s_delay_alu instid0(VALU_DEP_3) | instskip(NEXT) | instid1(VALU_DEP_3)
	v_fma_f32 v2, -v14, v8, v20
	v_ashrrev_i32_e32 v14, 31, v1
	s_wait_alu 0xfffd
	s_delay_alu instid0(VALU_DEP_2)
	v_div_fmas_f32 v2, v2, v16, v8
	s_mov_b32 vcc_lo, s0
	s_wait_alu 0xfffe
	v_div_fmas_f32 v7, v7, v17, v11
	v_add_co_u32 v8, vcc_lo, v24, v13
	v_ashrrev_i32_e32 v13, 31, v6
	s_wait_alu 0xfffd
	v_add_co_ci_u32_e64 v11, null, v18, v19, vcc_lo
	v_div_fixup_f32 v2, v2, s12, v4
	v_add_co_u32 v4, vcc_lo, v5, v6
	s_wait_alu 0xfffd
	v_add_co_ci_u32_e64 v5, null, v12, v13, vcc_lo
	v_div_fixup_f32 v3, v7, s16, v3
	s_delay_alu instid0(VALU_DEP_3)
	v_add_co_u32 v4, vcc_lo, v4, s18
	v_med3_num_f32 v6, v2, s31, 0xc3e00000
	s_wait_alu 0xfffd
	v_add_co_ci_u32_e64 v5, null, s19, v5, vcc_lo
	v_cmp_nlg_f32_e64 vcc_lo, 0x7f800000, |v2|
	v_med3_num_f32 v7, v3, s31, 0xc3e00000
	s_wait_alu 0xfffd
	v_cndmask_b32_e32 v6, v6, v2, vcc_lo
	v_cmp_nlg_f32_e64 vcc_lo, 0x7f800000, |v3|
	v_add_nc_u32_e32 v0, s28, v0
	s_delay_alu instid0(VALU_DEP_3)
	v_cvt_pk_fp8_f32 v9, v6, v6
	s_wait_alu 0xfffd
	v_cndmask_b32_e32 v3, v7, v3, vcc_lo
	v_add_co_u32 v1, vcc_lo, v4, v1
	v_cmp_le_i32_e64 s1, s24, v0
	s_wait_alu 0xfffd
	v_add_co_ci_u32_e64 v2, null, v5, v14, vcc_lo
	v_cvt_pk_fp8_f32 v10, v3, v3
	v_add_co_u32 v3, vcc_lo, v8, s20
	s_wait_alu 0xfffd
	v_add_co_ci_u32_e64 v4, null, s21, v11, vcc_lo
	s_or_b32 s22, s1, s22
	global_store_b8 v[1:2], v9, off
	global_store_b8 v[3:4], v10, off
	s_wait_alu 0xfffe
	s_and_not1_b32 exec_lo, exec_lo, s22
	s_cbranch_execnz .LBB11_6
.LBB11_7:
	s_endpgm
.LBB11_8:
                                        ; implicit-def: $sgpr22_sgpr23
	s_branch .LBB11_3
	.section	.rodata,"a",@progbits
	.p2align	6, 0x0
	.amdhsa_kernel _ZN4vllm24reshape_and_cache_kernelIfhLNS_18Fp8KVCacheDataTypeE1EEEvPKT_S4_PT0_S6_PKliiiiiiPKfSA_
		.amdhsa_group_segment_fixed_size 0
		.amdhsa_private_segment_fixed_size 0
		.amdhsa_kernarg_size 336
		.amdhsa_user_sgpr_count 2
		.amdhsa_user_sgpr_dispatch_ptr 0
		.amdhsa_user_sgpr_queue_ptr 0
		.amdhsa_user_sgpr_kernarg_segment_ptr 1
		.amdhsa_user_sgpr_dispatch_id 0
		.amdhsa_user_sgpr_private_segment_size 0
		.amdhsa_wavefront_size32 1
		.amdhsa_uses_dynamic_stack 0
		.amdhsa_enable_private_segment 0
		.amdhsa_system_sgpr_workgroup_id_x 1
		.amdhsa_system_sgpr_workgroup_id_y 0
		.amdhsa_system_sgpr_workgroup_id_z 0
		.amdhsa_system_sgpr_workgroup_info 0
		.amdhsa_system_vgpr_workitem_id 0
		.amdhsa_next_free_vgpr 25
		.amdhsa_next_free_sgpr 43
		.amdhsa_reserve_vcc 1
		.amdhsa_float_round_mode_32 0
		.amdhsa_float_round_mode_16_64 0
		.amdhsa_float_denorm_mode_32 3
		.amdhsa_float_denorm_mode_16_64 3
		.amdhsa_fp16_overflow 0
		.amdhsa_workgroup_processor_mode 1
		.amdhsa_memory_ordered 1
		.amdhsa_forward_progress 1
		.amdhsa_inst_pref_size 16
		.amdhsa_round_robin_scheduling 0
		.amdhsa_exception_fp_ieee_invalid_op 0
		.amdhsa_exception_fp_denorm_src 0
		.amdhsa_exception_fp_ieee_div_zero 0
		.amdhsa_exception_fp_ieee_overflow 0
		.amdhsa_exception_fp_ieee_underflow 0
		.amdhsa_exception_fp_ieee_inexact 0
		.amdhsa_exception_int_div_zero 0
	.end_amdhsa_kernel
	.section	.text._ZN4vllm24reshape_and_cache_kernelIfhLNS_18Fp8KVCacheDataTypeE1EEEvPKT_S4_PT0_S6_PKliiiiiiPKfSA_,"axG",@progbits,_ZN4vllm24reshape_and_cache_kernelIfhLNS_18Fp8KVCacheDataTypeE1EEEvPKT_S4_PT0_S6_PKliiiiiiPKfSA_,comdat
.Lfunc_end11:
	.size	_ZN4vllm24reshape_and_cache_kernelIfhLNS_18Fp8KVCacheDataTypeE1EEEvPKT_S4_PT0_S6_PKliiiiiiPKfSA_, .Lfunc_end11-_ZN4vllm24reshape_and_cache_kernelIfhLNS_18Fp8KVCacheDataTypeE1EEEvPKT_S4_PT0_S6_PKliiiiiiPKfSA_
                                        ; -- End function
	.set _ZN4vllm24reshape_and_cache_kernelIfhLNS_18Fp8KVCacheDataTypeE1EEEvPKT_S4_PT0_S6_PKliiiiiiPKfSA_.num_vgpr, 25
	.set _ZN4vllm24reshape_and_cache_kernelIfhLNS_18Fp8KVCacheDataTypeE1EEEvPKT_S4_PT0_S6_PKliiiiiiPKfSA_.num_agpr, 0
	.set _ZN4vllm24reshape_and_cache_kernelIfhLNS_18Fp8KVCacheDataTypeE1EEEvPKT_S4_PT0_S6_PKliiiiiiPKfSA_.numbered_sgpr, 43
	.set _ZN4vllm24reshape_and_cache_kernelIfhLNS_18Fp8KVCacheDataTypeE1EEEvPKT_S4_PT0_S6_PKliiiiiiPKfSA_.num_named_barrier, 0
	.set _ZN4vllm24reshape_and_cache_kernelIfhLNS_18Fp8KVCacheDataTypeE1EEEvPKT_S4_PT0_S6_PKliiiiiiPKfSA_.private_seg_size, 0
	.set _ZN4vllm24reshape_and_cache_kernelIfhLNS_18Fp8KVCacheDataTypeE1EEEvPKT_S4_PT0_S6_PKliiiiiiPKfSA_.uses_vcc, 1
	.set _ZN4vllm24reshape_and_cache_kernelIfhLNS_18Fp8KVCacheDataTypeE1EEEvPKT_S4_PT0_S6_PKliiiiiiPKfSA_.uses_flat_scratch, 0
	.set _ZN4vllm24reshape_and_cache_kernelIfhLNS_18Fp8KVCacheDataTypeE1EEEvPKT_S4_PT0_S6_PKliiiiiiPKfSA_.has_dyn_sized_stack, 0
	.set _ZN4vllm24reshape_and_cache_kernelIfhLNS_18Fp8KVCacheDataTypeE1EEEvPKT_S4_PT0_S6_PKliiiiiiPKfSA_.has_recursion, 0
	.set _ZN4vllm24reshape_and_cache_kernelIfhLNS_18Fp8KVCacheDataTypeE1EEEvPKT_S4_PT0_S6_PKliiiiiiPKfSA_.has_indirect_call, 0
	.section	.AMDGPU.csdata,"",@progbits
; Kernel info:
; codeLenInByte = 2032
; TotalNumSgprs: 45
; NumVgprs: 25
; ScratchSize: 0
; MemoryBound: 0
; FloatMode: 240
; IeeeMode: 1
; LDSByteSize: 0 bytes/workgroup (compile time only)
; SGPRBlocks: 0
; VGPRBlocks: 3
; NumSGPRsForWavesPerEU: 45
; NumVGPRsForWavesPerEU: 25
; Occupancy: 16
; WaveLimiterHint : 1
; COMPUTE_PGM_RSRC2:SCRATCH_EN: 0
; COMPUTE_PGM_RSRC2:USER_SGPR: 2
; COMPUTE_PGM_RSRC2:TRAP_HANDLER: 0
; COMPUTE_PGM_RSRC2:TGID_X_EN: 1
; COMPUTE_PGM_RSRC2:TGID_Y_EN: 0
; COMPUTE_PGM_RSRC2:TGID_Z_EN: 0
; COMPUTE_PGM_RSRC2:TIDIG_COMP_CNT: 0
	.section	.text._ZN4vllm24reshape_and_cache_kernelIthLNS_18Fp8KVCacheDataTypeE1EEEvPKT_S4_PT0_S6_PKliiiiiiPKfSA_,"axG",@progbits,_ZN4vllm24reshape_and_cache_kernelIthLNS_18Fp8KVCacheDataTypeE1EEEvPKT_S4_PT0_S6_PKliiiiiiPKfSA_,comdat
	.protected	_ZN4vllm24reshape_and_cache_kernelIthLNS_18Fp8KVCacheDataTypeE1EEEvPKT_S4_PT0_S6_PKliiiiiiPKfSA_ ; -- Begin function _ZN4vllm24reshape_and_cache_kernelIthLNS_18Fp8KVCacheDataTypeE1EEEvPKT_S4_PT0_S6_PKliiiiiiPKfSA_
	.globl	_ZN4vllm24reshape_and_cache_kernelIthLNS_18Fp8KVCacheDataTypeE1EEEvPKT_S4_PT0_S6_PKliiiiiiPKfSA_
	.p2align	8
	.type	_ZN4vllm24reshape_and_cache_kernelIthLNS_18Fp8KVCacheDataTypeE1EEEvPKT_S4_PT0_S6_PKliiiiiiPKfSA_,@function
_ZN4vllm24reshape_and_cache_kernelIthLNS_18Fp8KVCacheDataTypeE1EEEvPKT_S4_PT0_S6_PKliiiiiiPKfSA_: ; @_ZN4vllm24reshape_and_cache_kernelIthLNS_18Fp8KVCacheDataTypeE1EEEvPKT_S4_PT0_S6_PKliiiiiiPKfSA_
; %bb.0:
	s_load_b64 s[2:3], s[0:1], 0x20
	s_mov_b32 s18, ttmp9
	s_mov_b32 s19, 0
	s_delay_alu instid0(SALU_CYCLE_1)
	s_lshl_b64 s[4:5], s[18:19], 3
	s_wait_kmcnt 0x0
	s_add_nc_u64 s[2:3], s[2:3], s[4:5]
	s_load_b64 s[20:21], s[2:3], 0x0
	s_wait_kmcnt 0x0
	v_cmp_lt_i64_e64 s2, s[20:21], 0
	s_and_b32 vcc_lo, exec_lo, s2
	s_cbranch_vccnz .LBB12_7
; %bb.1:
	s_clause 0x1
	s_load_b64 s[2:3], s[0:1], 0x38
	s_load_b128 s[12:15], s[0:1], 0x28
	s_wait_kmcnt 0x0
	s_ashr_i32 s17, s2, 31
	s_mov_b32 s16, s2
	s_delay_alu instid0(SALU_CYCLE_1) | instskip(SKIP_1) | instid1(SALU_CYCLE_1)
	s_or_b64 s[4:5], s[20:21], s[16:17]
	s_mov_b32 s4, s19
	s_cmp_lg_u64 s[4:5], 0
	s_cbranch_scc0 .LBB12_8
; %bb.2:
	s_ashr_i32 s4, s17, 31
	s_delay_alu instid0(SALU_CYCLE_1) | instskip(NEXT) | instid1(SALU_CYCLE_1)
	s_mov_b32 s5, s4
	s_add_nc_u64 s[6:7], s[16:17], s[4:5]
	s_delay_alu instid0(SALU_CYCLE_1) | instskip(NEXT) | instid1(SALU_CYCLE_1)
	s_xor_b64 s[6:7], s[6:7], s[4:5]
	s_cvt_f32_u32 s8, s6
	s_cvt_f32_u32 s9, s7
	s_sub_nc_u64 s[22:23], 0, s[6:7]
	s_delay_alu instid0(SALU_CYCLE_2) | instskip(NEXT) | instid1(SALU_CYCLE_3)
	s_fmamk_f32 s8, s9, 0x4f800000, s8
	v_s_rcp_f32 s8, s8
	s_delay_alu instid0(TRANS32_DEP_1) | instskip(SKIP_1) | instid1(SALU_CYCLE_2)
	s_mul_f32 s8, s8, 0x5f7ffffc
	s_wait_alu 0xfffe
	s_mul_f32 s9, s8, 0x2f800000
	s_wait_alu 0xfffe
	s_delay_alu instid0(SALU_CYCLE_2) | instskip(SKIP_1) | instid1(SALU_CYCLE_2)
	s_trunc_f32 s9, s9
	s_wait_alu 0xfffe
	s_fmamk_f32 s8, s9, 0xcf800000, s8
	s_cvt_u32_f32 s11, s9
	s_mov_b32 s9, 0
	s_wait_alu 0xfffe
	s_cvt_u32_f32 s10, s8
	s_delay_alu instid0(SALU_CYCLE_3) | instskip(NEXT) | instid1(SALU_CYCLE_1)
	s_mul_u64 s[24:25], s[22:23], s[10:11]
	s_mul_hi_u32 s27, s10, s25
	s_mul_i32 s26, s10, s25
	s_mul_hi_u32 s8, s10, s24
	s_mul_i32 s29, s11, s24
	s_wait_alu 0xfffe
	s_add_nc_u64 s[26:27], s[8:9], s[26:27]
	s_mul_hi_u32 s28, s11, s24
	s_mul_hi_u32 s30, s11, s25
	s_add_co_u32 s8, s26, s29
	s_add_co_ci_u32 s8, s27, s28
	s_mul_i32 s24, s11, s25
	s_add_co_ci_u32 s25, s30, 0
	s_wait_alu 0xfffe
	s_add_nc_u64 s[24:25], s[8:9], s[24:25]
	s_delay_alu instid0(SALU_CYCLE_1) | instskip(SKIP_4) | instid1(SALU_CYCLE_1)
	s_add_co_u32 s10, s10, s24
	s_cselect_b32 s8, -1, 0
	s_wait_alu 0xfffe
	s_cmp_lg_u32 s8, 0
	s_add_co_ci_u32 s11, s11, s25
	s_mul_u64 s[22:23], s[22:23], s[10:11]
	s_delay_alu instid0(SALU_CYCLE_1)
	s_mul_hi_u32 s25, s10, s23
	s_mul_i32 s24, s10, s23
	s_mul_hi_u32 s8, s10, s22
	s_mul_i32 s27, s11, s22
	s_wait_alu 0xfffe
	s_add_nc_u64 s[24:25], s[8:9], s[24:25]
	s_mul_hi_u32 s26, s11, s22
	s_mul_hi_u32 s28, s11, s23
	s_add_co_u32 s8, s24, s27
	s_add_co_ci_u32 s8, s25, s26
	s_mul_i32 s22, s11, s23
	s_add_co_ci_u32 s23, s28, 0
	s_wait_alu 0xfffe
	s_add_nc_u64 s[22:23], s[8:9], s[22:23]
	s_delay_alu instid0(SALU_CYCLE_1)
	s_add_co_u32 s26, s10, s22
	s_cselect_b32 s8, -1, 0
	s_wait_alu 0xfffe
	s_cmp_lg_u32 s8, 0
	s_add_co_ci_u32 s27, s11, s23
	s_ashr_i32 s10, s21, 31
	s_delay_alu instid0(SALU_CYCLE_1) | instskip(NEXT) | instid1(SALU_CYCLE_1)
	s_mov_b32 s11, s10
	s_add_nc_u64 s[22:23], s[20:21], s[10:11]
	s_delay_alu instid0(SALU_CYCLE_1) | instskip(NEXT) | instid1(SALU_CYCLE_1)
	s_xor_b64 s[22:23], s[22:23], s[10:11]
	s_mul_hi_u32 s25, s22, s27
	s_mul_i32 s24, s22, s27
	s_mul_hi_u32 s8, s22, s26
	s_mul_i32 s30, s23, s26
	s_wait_alu 0xfffe
	s_add_nc_u64 s[24:25], s[8:9], s[24:25]
	s_mul_hi_u32 s29, s23, s26
	s_mul_hi_u32 s28, s23, s27
	s_add_co_u32 s8, s24, s30
	s_add_co_ci_u32 s8, s25, s29
	s_mul_i32 s26, s23, s27
	s_add_co_ci_u32 s27, s28, 0
	s_wait_alu 0xfffe
	s_add_nc_u64 s[24:25], s[8:9], s[26:27]
	s_delay_alu instid0(SALU_CYCLE_1) | instskip(NEXT) | instid1(SALU_CYCLE_1)
	s_mul_u64 s[26:27], s[6:7], s[24:25]
	s_sub_co_u32 s8, s22, s26
	s_cselect_b32 s22, -1, 0
	s_sub_co_i32 s26, s23, s27
	s_cmp_lg_u32 s22, 0
	s_sub_co_ci_u32 s26, s26, s7
	s_wait_alu 0xfffe
	s_sub_co_u32 s28, s8, s6
	s_cselect_b32 s29, -1, 0
	s_delay_alu instid0(SALU_CYCLE_1) | instskip(SKIP_1) | instid1(SALU_CYCLE_1)
	s_cmp_lg_u32 s29, 0
	s_sub_co_ci_u32 s26, s26, 0
	s_cmp_ge_u32 s26, s7
	s_cselect_b32 s30, -1, 0
	s_cmp_ge_u32 s28, s6
	s_add_nc_u64 s[28:29], s[24:25], 1
	s_cselect_b32 s31, -1, 0
	s_cmp_eq_u32 s26, s7
	s_cselect_b32 s26, s31, s30
	s_add_nc_u64 s[30:31], s[24:25], 2
	s_cmp_lg_u32 s26, 0
	s_cselect_b32 s26, s30, s28
	s_cselect_b32 s28, s31, s29
	s_cmp_lg_u32 s22, 0
	s_sub_co_ci_u32 s22, s23, s27
	s_delay_alu instid0(SALU_CYCLE_1)
	s_cmp_ge_u32 s22, s7
	s_cselect_b32 s23, -1, 0
	s_cmp_ge_u32 s8, s6
	s_cselect_b32 s6, -1, 0
	s_cmp_eq_u32 s22, s7
	s_cselect_b32 s6, s6, s23
	s_delay_alu instid0(SALU_CYCLE_1) | instskip(SKIP_3) | instid1(SALU_CYCLE_1)
	s_cmp_lg_u32 s6, 0
	s_cselect_b32 s7, s28, s25
	s_cselect_b32 s6, s26, s24
	s_xor_b64 s[4:5], s[10:11], s[4:5]
	s_xor_b64 s[6:7], s[6:7], s[4:5]
	s_delay_alu instid0(SALU_CYCLE_1)
	s_sub_nc_u64 s[22:23], s[6:7], s[4:5]
	s_cbranch_execnz .LBB12_4
.LBB12_3:
	v_cvt_f32_u32_e32 v1, s16
	s_sub_co_i32 s5, 0, s16
	s_mov_b32 s23, 0
	s_delay_alu instid0(VALU_DEP_1) | instskip(NEXT) | instid1(TRANS32_DEP_1)
	v_rcp_iflag_f32_e32 v1, v1
	v_mul_f32_e32 v1, 0x4f7ffffe, v1
	s_delay_alu instid0(VALU_DEP_1) | instskip(NEXT) | instid1(VALU_DEP_1)
	v_cvt_u32_f32_e32 v1, v1
	v_readfirstlane_b32 s4, v1
	s_mul_i32 s5, s5, s4
	s_delay_alu instid0(SALU_CYCLE_1) | instskip(NEXT) | instid1(SALU_CYCLE_1)
	s_mul_hi_u32 s5, s4, s5
	s_add_co_i32 s4, s4, s5
	s_delay_alu instid0(SALU_CYCLE_1) | instskip(NEXT) | instid1(SALU_CYCLE_1)
	s_mul_hi_u32 s4, s20, s4
	s_mul_i32 s5, s4, s16
	s_add_co_i32 s6, s4, 1
	s_sub_co_i32 s5, s20, s5
	s_delay_alu instid0(SALU_CYCLE_1)
	s_sub_co_i32 s7, s5, s16
	s_cmp_ge_u32 s5, s16
	s_cselect_b32 s4, s6, s4
	s_cselect_b32 s5, s7, s5
	s_add_co_i32 s6, s4, 1
	s_cmp_ge_u32 s5, s16
	s_cselect_b32 s22, s6, s4
.LBB12_4:
	s_mul_i32 s24, s15, s14
	s_mov_b32 s4, exec_lo
	v_cmpx_gt_i32_e64 s24, v0
	s_cbranch_execz .LBB12_7
; %bb.5:
	s_abs_i32 s25, s3
	s_ashr_i32 s35, s12, 31
	s_wait_alu 0xfffe
	s_cvt_f32_u32 s28, s25
	s_mov_b32 s34, s12
	s_ashr_i32 s37, s13, 31
	s_mov_b32 s36, s13
	v_rcp_iflag_f32_e32 v1, s28
	s_clause 0x2
	s_load_b256 s[4:11], s[0:1], 0x0
	s_load_b128 s[28:31], s[0:1], 0x40
	s_load_b32 s40, s[0:1], 0x5c
	s_mul_u64 s[0:1], s[34:35], s[18:19]
	s_mul_u64 s[34:35], s[36:37], s[18:19]
	s_sub_co_i32 s19, 0, s25
	s_mul_u64 s[26:27], s[22:23], s[16:17]
	s_ashr_i32 s39, s14, 31
	s_mov_b32 s38, s14
	s_abs_i32 s14, s15
	v_readfirstlane_b32 s33, v1
	s_sub_nc_u64 s[20:21], s[20:21], s[26:27]
	s_mul_u64 s[36:37], s[26:27], s[38:39]
	s_ashr_i32 s17, s3, 31
	s_mov_b32 s16, s3
	s_mul_f32 s33, s33, 0x4f7ffffe
	s_cvt_f32_u32 s41, s14
	s_ashr_i32 s13, s15, 31
	s_mov_b32 s12, s15
	s_cvt_u32_f32 s18, s33
	s_wait_alu 0xfffe
	s_mul_u64 s[38:39], s[36:37], s[16:17]
	s_mul_u64 s[36:37], s[36:37], s[12:13]
	v_rcp_iflag_f32_e32 v1, s41
	s_mul_i32 s19, s19, s18
	s_xor_b32 s33, s13, s17
	s_mul_hi_u32 s19, s18, s19
	s_mul_i32 s23, s3, s2
	s_add_co_i32 s26, s18, s19
	s_mul_u64 s[18:19], s[20:21], s[16:17]
	s_mul_hi_u32 s27, s14, s26
	s_mov_b32 s22, 0
	s_mul_i32 s16, s27, s25
	v_readfirstlane_b32 s42, v1
	s_wait_alu 0xfffe
	s_sub_co_i32 s12, s14, s16
	s_add_co_i32 s16, s27, 1
	s_sub_co_i32 s41, s12, s25
	s_cmp_ge_u32 s12, s25
	s_wait_kmcnt 0x0
	s_add_nc_u64 s[10:11], s[10:11], s[36:37]
	s_wait_alu 0xfffe
	s_cselect_b32 s16, s16, s27
	s_cselect_b32 s12, s41, s12
	s_wait_alu 0xfffe
	s_add_co_i32 s27, s16, 1
	s_cmp_ge_u32 s12, s25
	s_load_b32 s12, s[28:29], 0x0
	s_cselect_b32 s27, s27, s16
	s_load_b32 s16, s[30:31], 0x0
	s_mul_f32 s30, s42, 0x4f7ffffe
	s_lshl_b64 s[0:1], s[0:1], 1
	s_xor_b32 s27, s27, s33
	s_add_nc_u64 s[4:5], s[4:5], s[0:1]
	s_lshl_b64 s[0:1], s[34:35], 1
	s_cvt_u32_f32 s30, s30
	s_sub_co_i32 s28, s27, s33
	s_add_nc_u64 s[6:7], s[6:7], s[0:1]
	s_sub_co_i32 s0, 0, s14
	s_wait_alu 0xfffe
	s_ashr_i32 s29, s28, 31
	s_mul_i32 s0, s0, s30
	s_mul_i32 s27, s23, s28
	s_wait_alu 0xfffe
	s_mul_u64 s[28:29], s[38:39], s[28:29]
	s_mul_hi_u32 s0, s30, s0
	s_wait_alu 0xfffe
	s_add_nc_u64 s[8:9], s[8:9], s[28:29]
	s_and_b32 s28, s40, 0xffff
	s_add_co_i32 s29, s30, s0
	s_sub_co_i32 s30, 0, s15
	s_sub_co_i32 s3, 0, s3
	s_mov_b32 s31, 0x43e00000
.LBB12_6:                               ; =>This Inner Loop Header: Depth=1
	v_ashrrev_i32_e32 v1, 31, v0
	v_mov_b32_e32 v15, 0
	s_delay_alu instid0(VALU_DEP_2) | instskip(NEXT) | instid1(VALU_DEP_1)
	v_lshlrev_b64_e32 v[2:3], 1, v[0:1]
	v_add_co_u32 v4, vcc_lo, s4, v2
	s_wait_alu 0xfffd
	s_delay_alu instid0(VALU_DEP_2)
	v_add_co_ci_u32_e64 v5, null, s5, v3, vcc_lo
	v_add_co_u32 v2, vcc_lo, s6, v2
	s_wait_alu 0xfffd
	v_add_co_ci_u32_e64 v3, null, s7, v3, vcc_lo
	global_load_u16 v4, v[4:5], off
	global_load_u16 v3, v[2:3], off
	v_sub_nc_u32_e32 v2, 0, v0
	s_delay_alu instid0(VALU_DEP_1) | instskip(SKIP_1) | instid1(VALU_DEP_1)
	v_max_i32_e32 v2, v0, v2
	s_wait_alu 0xfffe
	v_mul_hi_u32 v5, v2, s29
	s_delay_alu instid0(VALU_DEP_1) | instskip(NEXT) | instid1(VALU_DEP_1)
	v_mul_lo_u32 v6, v5, s14
	v_sub_nc_u32_e32 v2, v2, v6
	v_add_nc_u32_e32 v6, 1, v5
	s_delay_alu instid0(VALU_DEP_2) | instskip(SKIP_2) | instid1(VALU_DEP_2)
	v_subrev_nc_u32_e32 v7, s14, v2
	v_cmp_le_u32_e32 vcc_lo, s14, v2
	s_wait_alu 0xfffd
	v_dual_cndmask_b32 v5, v5, v6 :: v_dual_cndmask_b32 v2, v2, v7
	v_xor_b32_e32 v7, s13, v1
	s_delay_alu instid0(VALU_DEP_2)
	v_cmp_le_u32_e32 vcc_lo, s14, v2
	s_wait_loadcnt 0x1
	v_cvt_f32_f16_e32 v4, v4
	s_wait_loadcnt 0x0
	v_cvt_f32_f16_e32 v3, v3
	s_wait_kmcnt 0x0
	s_delay_alu instid0(VALU_DEP_2) | instskip(NEXT) | instid1(VALU_DEP_2)
	v_div_scale_f32 v10, null, s12, s12, v4
	v_div_scale_f32 v11, null, s16, s16, v3
	v_div_scale_f32 v20, s1, v3, s16, v3
	s_delay_alu instid0(VALU_DEP_3) | instskip(NEXT) | instid1(VALU_DEP_2)
	v_rcp_f32_e32 v13, v10
	v_rcp_f32_e32 v14, v11
	v_div_scale_f32 v19, s0, v4, s12, v4
	s_delay_alu instid0(TRANS32_DEP_2) | instskip(NEXT) | instid1(TRANS32_DEP_1)
	v_fma_f32 v17, -v10, v13, 1.0
	v_fma_f32 v18, -v11, v14, 1.0
	s_delay_alu instid0(VALU_DEP_1) | instskip(SKIP_1) | instid1(VALU_DEP_2)
	v_dual_fmac_f32 v13, v17, v13 :: v_dual_fmac_f32 v14, v18, v14
	v_add_nc_u32_e32 v6, 1, v5
	v_dual_mul_f32 v18, v19, v13 :: v_dual_mul_f32 v21, v20, v14
	s_wait_alu 0xfffd
	s_delay_alu instid0(VALU_DEP_2) | instskip(NEXT) | instid1(VALU_DEP_1)
	v_cndmask_b32_e32 v2, v5, v6, vcc_lo
	v_xor_b32_e32 v2, v2, v7
	s_delay_alu instid0(VALU_DEP_1) | instskip(NEXT) | instid1(VALU_DEP_1)
	v_sub_nc_u32_e32 v5, v2, v7
	v_mad_co_u64_u32 v[1:2], null, s30, v5, v[0:1]
	v_mul_lo_u32 v2, v5, s15
	v_mul_lo_u32 v5, s27, v5
	s_delay_alu instid0(VALU_DEP_3) | instskip(SKIP_1) | instid1(VALU_DEP_3)
	v_ashrrev_i32_e32 v6, 31, v1
	v_mul_lo_u32 v17, v1, s2
	v_ashrrev_i32_e32 v16, 31, v5
	s_delay_alu instid0(VALU_DEP_3) | instskip(SKIP_1) | instid1(VALU_DEP_2)
	v_sub_nc_u32_e32 v7, v6, v2
	v_mul_lo_u32 v2, v2, s2
	v_add_nc_u32_e32 v7, v0, v7
	v_add_nc_u32_e32 v0, s28, v0
	s_delay_alu instid0(VALU_DEP_3) | instskip(NEXT) | instid1(VALU_DEP_3)
	v_ashrrev_i32_e32 v22, 31, v2
	v_xor_b32_e32 v7, v7, v6
	v_xor_b32_e32 v6, s17, v6
	s_delay_alu instid0(VALU_DEP_2) | instskip(SKIP_1) | instid1(VALU_DEP_2)
	v_mul_hi_u32 v8, v7, s26
	v_mov_b32_e32 v12, 0
	v_mul_lo_u32 v9, v8, s25
	s_delay_alu instid0(VALU_DEP_1) | instskip(SKIP_1) | instid1(VALU_DEP_2)
	v_sub_nc_u32_e32 v7, v7, v9
	v_add_nc_u32_e32 v9, 1, v8
	v_cmp_le_u32_e32 vcc_lo, s25, v7
	s_wait_alu 0xfffd
	s_delay_alu instid0(VALU_DEP_2) | instskip(SKIP_1) | instid1(VALU_DEP_1)
	v_cndmask_b32_e32 v8, v8, v9, vcc_lo
	v_subrev_nc_u32_e32 v9, s25, v7
	v_cndmask_b32_e32 v7, v7, v9, vcc_lo
	s_delay_alu instid0(VALU_DEP_3) | instskip(NEXT) | instid1(VALU_DEP_2)
	v_add_nc_u32_e32 v9, 1, v8
	v_cmp_le_u32_e32 vcc_lo, s25, v7
	s_wait_alu 0xfffd
	s_delay_alu instid0(VALU_DEP_2) | instskip(SKIP_3) | instid1(VALU_DEP_4)
	v_cndmask_b32_e32 v7, v8, v9, vcc_lo
	v_fma_f32 v8, -v10, v18, v19
	v_fma_f32 v9, -v11, v21, v20
	v_add_co_u32 v5, vcc_lo, s8, v5
	v_xor_b32_e32 v7, v7, v6
	s_delay_alu instid0(VALU_DEP_3) | instskip(SKIP_2) | instid1(VALU_DEP_3)
	v_dual_fmac_f32 v18, v8, v13 :: v_dual_fmac_f32 v21, v9, v14
	s_wait_alu 0xfffd
	v_add_co_ci_u32_e64 v16, null, s9, v16, vcc_lo
	v_sub_nc_u32_e32 v6, v7, v6
	s_delay_alu instid0(VALU_DEP_3)
	v_fma_f32 v9, -v10, v18, v19
	v_fma_f32 v7, -v11, v21, v20
	s_mov_b32 vcc_lo, s0
	v_ashrrev_i32_e32 v8, 31, v17
	s_wait_alu 0xfffe
	v_div_fmas_f32 v9, v9, v13, v18
	s_mov_b32 vcc_lo, s1
	s_wait_alu 0xfffe
	v_div_fmas_f32 v7, v7, v14, v21
	v_add_co_u32 v10, vcc_lo, s10, v2
	v_div_fixup_f32 v4, v9, s12, v4
	s_wait_alu 0xfffd
	v_add_co_ci_u32_e64 v11, null, s11, v22, vcc_lo
	v_div_fixup_f32 v3, v7, s16, v3
	v_mul_lo_u32 v7, s23, v6
	v_mad_co_u64_u32 v[1:2], null, s3, v6, v[1:2]
	v_cvt_f16_f32_e32 v2, v4
	v_add_co_u32 v4, s0, v10, v17
	s_wait_alu 0xf1ff
	v_add_co_ci_u32_e64 v6, null, v11, v8, s0
	v_ashrrev_i32_e32 v8, 31, v7
	v_add_co_u32 v5, s0, v5, v7
	v_cvt_f16_f32_e32 v3, v3
	v_cvt_f32_f16_e32 v2, v2
	s_wait_alu 0xf1ff
	v_add_co_ci_u32_e64 v7, null, v16, v8, s0
	v_add_co_u32 v5, s0, v5, s18
	v_cvt_f32_f16_e32 v3, v3
	v_med3_num_f32 v8, v2, s31, 0xc3e00000
	s_wait_alu 0xf1ff
	v_add_co_ci_u32_e64 v7, null, s19, v7, s0
	v_cmp_nlg_f32_e64 s0, 0x7f800000, |v2|
	v_med3_num_f32 v10, v3, s31, 0xc3e00000
	v_ashrrev_i32_e32 v9, 31, v1
	v_cmp_le_i32_e32 vcc_lo, s24, v0
	s_wait_alu 0xf1ff
	v_cndmask_b32_e64 v8, v8, v2, s0
	v_cmp_nlg_f32_e64 s0, 0x7f800000, |v3|
	s_or_b32 s22, vcc_lo, s22
	v_cvt_pk_fp8_f32 v12, v8, v8
	v_cndmask_b32_e64 v3, v10, v3, s0
	v_add_co_u32 v1, s0, v5, v1
	s_wait_alu 0xf1ff
	v_add_co_ci_u32_e64 v2, null, v7, v9, s0
	s_delay_alu instid0(VALU_DEP_3)
	v_cvt_pk_fp8_f32 v15, v3, v3
	v_add_co_u32 v3, s0, v4, s20
	s_wait_alu 0xf1ff
	v_add_co_ci_u32_e64 v4, null, s21, v6, s0
	global_store_b8 v[1:2], v12, off
	global_store_b8 v[3:4], v15, off
	s_wait_alu 0xfffe
	s_and_not1_b32 exec_lo, exec_lo, s22
	s_cbranch_execnz .LBB12_6
.LBB12_7:
	s_endpgm
.LBB12_8:
                                        ; implicit-def: $sgpr22_sgpr23
	s_branch .LBB12_3
	.section	.rodata,"a",@progbits
	.p2align	6, 0x0
	.amdhsa_kernel _ZN4vllm24reshape_and_cache_kernelIthLNS_18Fp8KVCacheDataTypeE1EEEvPKT_S4_PT0_S6_PKliiiiiiPKfSA_
		.amdhsa_group_segment_fixed_size 0
		.amdhsa_private_segment_fixed_size 0
		.amdhsa_kernarg_size 336
		.amdhsa_user_sgpr_count 2
		.amdhsa_user_sgpr_dispatch_ptr 0
		.amdhsa_user_sgpr_queue_ptr 0
		.amdhsa_user_sgpr_kernarg_segment_ptr 1
		.amdhsa_user_sgpr_dispatch_id 0
		.amdhsa_user_sgpr_private_segment_size 0
		.amdhsa_wavefront_size32 1
		.amdhsa_uses_dynamic_stack 0
		.amdhsa_enable_private_segment 0
		.amdhsa_system_sgpr_workgroup_id_x 1
		.amdhsa_system_sgpr_workgroup_id_y 0
		.amdhsa_system_sgpr_workgroup_id_z 0
		.amdhsa_system_sgpr_workgroup_info 0
		.amdhsa_system_vgpr_workitem_id 0
		.amdhsa_next_free_vgpr 23
		.amdhsa_next_free_sgpr 43
		.amdhsa_reserve_vcc 1
		.amdhsa_float_round_mode_32 0
		.amdhsa_float_round_mode_16_64 0
		.amdhsa_float_denorm_mode_32 3
		.amdhsa_float_denorm_mode_16_64 3
		.amdhsa_fp16_overflow 0
		.amdhsa_workgroup_processor_mode 1
		.amdhsa_memory_ordered 1
		.amdhsa_forward_progress 1
		.amdhsa_inst_pref_size 16
		.amdhsa_round_robin_scheduling 0
		.amdhsa_exception_fp_ieee_invalid_op 0
		.amdhsa_exception_fp_denorm_src 0
		.amdhsa_exception_fp_ieee_div_zero 0
		.amdhsa_exception_fp_ieee_overflow 0
		.amdhsa_exception_fp_ieee_underflow 0
		.amdhsa_exception_fp_ieee_inexact 0
		.amdhsa_exception_int_div_zero 0
	.end_amdhsa_kernel
	.section	.text._ZN4vllm24reshape_and_cache_kernelIthLNS_18Fp8KVCacheDataTypeE1EEEvPKT_S4_PT0_S6_PKliiiiiiPKfSA_,"axG",@progbits,_ZN4vllm24reshape_and_cache_kernelIthLNS_18Fp8KVCacheDataTypeE1EEEvPKT_S4_PT0_S6_PKliiiiiiPKfSA_,comdat
.Lfunc_end12:
	.size	_ZN4vllm24reshape_and_cache_kernelIthLNS_18Fp8KVCacheDataTypeE1EEEvPKT_S4_PT0_S6_PKliiiiiiPKfSA_, .Lfunc_end12-_ZN4vllm24reshape_and_cache_kernelIthLNS_18Fp8KVCacheDataTypeE1EEEvPKT_S4_PT0_S6_PKliiiiiiPKfSA_
                                        ; -- End function
	.set _ZN4vllm24reshape_and_cache_kernelIthLNS_18Fp8KVCacheDataTypeE1EEEvPKT_S4_PT0_S6_PKliiiiiiPKfSA_.num_vgpr, 23
	.set _ZN4vllm24reshape_and_cache_kernelIthLNS_18Fp8KVCacheDataTypeE1EEEvPKT_S4_PT0_S6_PKliiiiiiPKfSA_.num_agpr, 0
	.set _ZN4vllm24reshape_and_cache_kernelIthLNS_18Fp8KVCacheDataTypeE1EEEvPKT_S4_PT0_S6_PKliiiiiiPKfSA_.numbered_sgpr, 43
	.set _ZN4vllm24reshape_and_cache_kernelIthLNS_18Fp8KVCacheDataTypeE1EEEvPKT_S4_PT0_S6_PKliiiiiiPKfSA_.num_named_barrier, 0
	.set _ZN4vllm24reshape_and_cache_kernelIthLNS_18Fp8KVCacheDataTypeE1EEEvPKT_S4_PT0_S6_PKliiiiiiPKfSA_.private_seg_size, 0
	.set _ZN4vllm24reshape_and_cache_kernelIthLNS_18Fp8KVCacheDataTypeE1EEEvPKT_S4_PT0_S6_PKliiiiiiPKfSA_.uses_vcc, 1
	.set _ZN4vllm24reshape_and_cache_kernelIthLNS_18Fp8KVCacheDataTypeE1EEEvPKT_S4_PT0_S6_PKliiiiiiPKfSA_.uses_flat_scratch, 0
	.set _ZN4vllm24reshape_and_cache_kernelIthLNS_18Fp8KVCacheDataTypeE1EEEvPKT_S4_PT0_S6_PKliiiiiiPKfSA_.has_dyn_sized_stack, 0
	.set _ZN4vllm24reshape_and_cache_kernelIthLNS_18Fp8KVCacheDataTypeE1EEEvPKT_S4_PT0_S6_PKliiiiiiPKfSA_.has_recursion, 0
	.set _ZN4vllm24reshape_and_cache_kernelIthLNS_18Fp8KVCacheDataTypeE1EEEvPKT_S4_PT0_S6_PKliiiiiiPKfSA_.has_indirect_call, 0
	.section	.AMDGPU.csdata,"",@progbits
; Kernel info:
; codeLenInByte = 2044
; TotalNumSgprs: 45
; NumVgprs: 23
; ScratchSize: 0
; MemoryBound: 0
; FloatMode: 240
; IeeeMode: 1
; LDSByteSize: 0 bytes/workgroup (compile time only)
; SGPRBlocks: 0
; VGPRBlocks: 2
; NumSGPRsForWavesPerEU: 45
; NumVGPRsForWavesPerEU: 23
; Occupancy: 16
; WaveLimiterHint : 1
; COMPUTE_PGM_RSRC2:SCRATCH_EN: 0
; COMPUTE_PGM_RSRC2:USER_SGPR: 2
; COMPUTE_PGM_RSRC2:TRAP_HANDLER: 0
; COMPUTE_PGM_RSRC2:TGID_X_EN: 1
; COMPUTE_PGM_RSRC2:TGID_Y_EN: 0
; COMPUTE_PGM_RSRC2:TGID_Z_EN: 0
; COMPUTE_PGM_RSRC2:TIDIG_COMP_CNT: 0
	.section	.text._ZN4vllm24reshape_and_cache_kernelI14__hip_bfloat16hLNS_18Fp8KVCacheDataTypeE1EEEvPKT_S5_PT0_S7_PKliiiiiiPKfSB_,"axG",@progbits,_ZN4vllm24reshape_and_cache_kernelI14__hip_bfloat16hLNS_18Fp8KVCacheDataTypeE1EEEvPKT_S5_PT0_S7_PKliiiiiiPKfSB_,comdat
	.protected	_ZN4vllm24reshape_and_cache_kernelI14__hip_bfloat16hLNS_18Fp8KVCacheDataTypeE1EEEvPKT_S5_PT0_S7_PKliiiiiiPKfSB_ ; -- Begin function _ZN4vllm24reshape_and_cache_kernelI14__hip_bfloat16hLNS_18Fp8KVCacheDataTypeE1EEEvPKT_S5_PT0_S7_PKliiiiiiPKfSB_
	.globl	_ZN4vllm24reshape_and_cache_kernelI14__hip_bfloat16hLNS_18Fp8KVCacheDataTypeE1EEEvPKT_S5_PT0_S7_PKliiiiiiPKfSB_
	.p2align	8
	.type	_ZN4vllm24reshape_and_cache_kernelI14__hip_bfloat16hLNS_18Fp8KVCacheDataTypeE1EEEvPKT_S5_PT0_S7_PKliiiiiiPKfSB_,@function
_ZN4vllm24reshape_and_cache_kernelI14__hip_bfloat16hLNS_18Fp8KVCacheDataTypeE1EEEvPKT_S5_PT0_S7_PKliiiiiiPKfSB_: ; @_ZN4vllm24reshape_and_cache_kernelI14__hip_bfloat16hLNS_18Fp8KVCacheDataTypeE1EEEvPKT_S5_PT0_S7_PKliiiiiiPKfSB_
; %bb.0:
	s_load_b64 s[2:3], s[0:1], 0x20
	s_mov_b32 s18, ttmp9
	s_mov_b32 s19, 0
	s_delay_alu instid0(SALU_CYCLE_1)
	s_lshl_b64 s[4:5], s[18:19], 3
	s_wait_kmcnt 0x0
	s_add_nc_u64 s[2:3], s[2:3], s[4:5]
	s_load_b64 s[20:21], s[2:3], 0x0
	s_wait_kmcnt 0x0
	v_cmp_lt_i64_e64 s2, s[20:21], 0
	s_and_b32 vcc_lo, exec_lo, s2
	s_cbranch_vccnz .LBB13_7
; %bb.1:
	s_clause 0x1
	s_load_b64 s[2:3], s[0:1], 0x38
	s_load_b128 s[12:15], s[0:1], 0x28
	s_wait_kmcnt 0x0
	s_ashr_i32 s17, s2, 31
	s_mov_b32 s16, s2
	s_delay_alu instid0(SALU_CYCLE_1) | instskip(SKIP_1) | instid1(SALU_CYCLE_1)
	s_or_b64 s[4:5], s[20:21], s[16:17]
	s_mov_b32 s4, s19
	s_cmp_lg_u64 s[4:5], 0
	s_cbranch_scc0 .LBB13_8
; %bb.2:
	s_ashr_i32 s4, s17, 31
	s_delay_alu instid0(SALU_CYCLE_1) | instskip(NEXT) | instid1(SALU_CYCLE_1)
	s_mov_b32 s5, s4
	s_add_nc_u64 s[6:7], s[16:17], s[4:5]
	s_delay_alu instid0(SALU_CYCLE_1) | instskip(NEXT) | instid1(SALU_CYCLE_1)
	s_xor_b64 s[6:7], s[6:7], s[4:5]
	s_cvt_f32_u32 s8, s6
	s_cvt_f32_u32 s9, s7
	s_sub_nc_u64 s[22:23], 0, s[6:7]
	s_delay_alu instid0(SALU_CYCLE_2) | instskip(NEXT) | instid1(SALU_CYCLE_3)
	s_fmamk_f32 s8, s9, 0x4f800000, s8
	v_s_rcp_f32 s8, s8
	s_delay_alu instid0(TRANS32_DEP_1) | instskip(SKIP_1) | instid1(SALU_CYCLE_2)
	s_mul_f32 s8, s8, 0x5f7ffffc
	s_wait_alu 0xfffe
	s_mul_f32 s9, s8, 0x2f800000
	s_wait_alu 0xfffe
	s_delay_alu instid0(SALU_CYCLE_2) | instskip(SKIP_1) | instid1(SALU_CYCLE_2)
	s_trunc_f32 s9, s9
	s_wait_alu 0xfffe
	s_fmamk_f32 s8, s9, 0xcf800000, s8
	s_cvt_u32_f32 s11, s9
	s_mov_b32 s9, 0
	s_wait_alu 0xfffe
	s_cvt_u32_f32 s10, s8
	s_delay_alu instid0(SALU_CYCLE_3) | instskip(NEXT) | instid1(SALU_CYCLE_1)
	s_mul_u64 s[24:25], s[22:23], s[10:11]
	s_mul_hi_u32 s27, s10, s25
	s_mul_i32 s26, s10, s25
	s_mul_hi_u32 s8, s10, s24
	s_mul_i32 s29, s11, s24
	s_wait_alu 0xfffe
	s_add_nc_u64 s[26:27], s[8:9], s[26:27]
	s_mul_hi_u32 s28, s11, s24
	s_mul_hi_u32 s30, s11, s25
	s_add_co_u32 s8, s26, s29
	s_add_co_ci_u32 s8, s27, s28
	s_mul_i32 s24, s11, s25
	s_add_co_ci_u32 s25, s30, 0
	s_wait_alu 0xfffe
	s_add_nc_u64 s[24:25], s[8:9], s[24:25]
	s_delay_alu instid0(SALU_CYCLE_1) | instskip(SKIP_4) | instid1(SALU_CYCLE_1)
	s_add_co_u32 s10, s10, s24
	s_cselect_b32 s8, -1, 0
	s_wait_alu 0xfffe
	s_cmp_lg_u32 s8, 0
	s_add_co_ci_u32 s11, s11, s25
	s_mul_u64 s[22:23], s[22:23], s[10:11]
	s_delay_alu instid0(SALU_CYCLE_1)
	s_mul_hi_u32 s25, s10, s23
	s_mul_i32 s24, s10, s23
	s_mul_hi_u32 s8, s10, s22
	s_mul_i32 s27, s11, s22
	s_wait_alu 0xfffe
	s_add_nc_u64 s[24:25], s[8:9], s[24:25]
	s_mul_hi_u32 s26, s11, s22
	s_mul_hi_u32 s28, s11, s23
	s_add_co_u32 s8, s24, s27
	s_add_co_ci_u32 s8, s25, s26
	s_mul_i32 s22, s11, s23
	s_add_co_ci_u32 s23, s28, 0
	s_wait_alu 0xfffe
	s_add_nc_u64 s[22:23], s[8:9], s[22:23]
	s_delay_alu instid0(SALU_CYCLE_1)
	s_add_co_u32 s26, s10, s22
	s_cselect_b32 s8, -1, 0
	s_wait_alu 0xfffe
	s_cmp_lg_u32 s8, 0
	s_add_co_ci_u32 s27, s11, s23
	s_ashr_i32 s10, s21, 31
	s_delay_alu instid0(SALU_CYCLE_1) | instskip(NEXT) | instid1(SALU_CYCLE_1)
	s_mov_b32 s11, s10
	s_add_nc_u64 s[22:23], s[20:21], s[10:11]
	s_delay_alu instid0(SALU_CYCLE_1) | instskip(NEXT) | instid1(SALU_CYCLE_1)
	s_xor_b64 s[22:23], s[22:23], s[10:11]
	s_mul_hi_u32 s25, s22, s27
	s_mul_i32 s24, s22, s27
	s_mul_hi_u32 s8, s22, s26
	s_mul_i32 s30, s23, s26
	s_wait_alu 0xfffe
	s_add_nc_u64 s[24:25], s[8:9], s[24:25]
	s_mul_hi_u32 s29, s23, s26
	s_mul_hi_u32 s28, s23, s27
	s_add_co_u32 s8, s24, s30
	s_add_co_ci_u32 s8, s25, s29
	s_mul_i32 s26, s23, s27
	s_add_co_ci_u32 s27, s28, 0
	s_wait_alu 0xfffe
	s_add_nc_u64 s[24:25], s[8:9], s[26:27]
	s_delay_alu instid0(SALU_CYCLE_1) | instskip(NEXT) | instid1(SALU_CYCLE_1)
	s_mul_u64 s[26:27], s[6:7], s[24:25]
	s_sub_co_u32 s8, s22, s26
	s_cselect_b32 s22, -1, 0
	s_sub_co_i32 s26, s23, s27
	s_cmp_lg_u32 s22, 0
	s_sub_co_ci_u32 s26, s26, s7
	s_wait_alu 0xfffe
	s_sub_co_u32 s28, s8, s6
	s_cselect_b32 s29, -1, 0
	s_delay_alu instid0(SALU_CYCLE_1) | instskip(SKIP_1) | instid1(SALU_CYCLE_1)
	s_cmp_lg_u32 s29, 0
	s_sub_co_ci_u32 s26, s26, 0
	s_cmp_ge_u32 s26, s7
	s_cselect_b32 s30, -1, 0
	s_cmp_ge_u32 s28, s6
	s_add_nc_u64 s[28:29], s[24:25], 1
	s_cselect_b32 s31, -1, 0
	s_cmp_eq_u32 s26, s7
	s_cselect_b32 s26, s31, s30
	s_add_nc_u64 s[30:31], s[24:25], 2
	s_cmp_lg_u32 s26, 0
	s_cselect_b32 s26, s30, s28
	s_cselect_b32 s28, s31, s29
	s_cmp_lg_u32 s22, 0
	s_sub_co_ci_u32 s22, s23, s27
	s_delay_alu instid0(SALU_CYCLE_1)
	s_cmp_ge_u32 s22, s7
	s_cselect_b32 s23, -1, 0
	s_cmp_ge_u32 s8, s6
	s_cselect_b32 s6, -1, 0
	s_cmp_eq_u32 s22, s7
	s_cselect_b32 s6, s6, s23
	s_delay_alu instid0(SALU_CYCLE_1) | instskip(SKIP_3) | instid1(SALU_CYCLE_1)
	s_cmp_lg_u32 s6, 0
	s_cselect_b32 s7, s28, s25
	s_cselect_b32 s6, s26, s24
	s_xor_b64 s[4:5], s[10:11], s[4:5]
	s_xor_b64 s[6:7], s[6:7], s[4:5]
	s_delay_alu instid0(SALU_CYCLE_1)
	s_sub_nc_u64 s[22:23], s[6:7], s[4:5]
	s_cbranch_execnz .LBB13_4
.LBB13_3:
	v_cvt_f32_u32_e32 v1, s16
	s_sub_co_i32 s5, 0, s16
	s_mov_b32 s23, 0
	s_delay_alu instid0(VALU_DEP_1) | instskip(NEXT) | instid1(TRANS32_DEP_1)
	v_rcp_iflag_f32_e32 v1, v1
	v_mul_f32_e32 v1, 0x4f7ffffe, v1
	s_delay_alu instid0(VALU_DEP_1) | instskip(NEXT) | instid1(VALU_DEP_1)
	v_cvt_u32_f32_e32 v1, v1
	v_readfirstlane_b32 s4, v1
	s_mul_i32 s5, s5, s4
	s_delay_alu instid0(SALU_CYCLE_1) | instskip(NEXT) | instid1(SALU_CYCLE_1)
	s_mul_hi_u32 s5, s4, s5
	s_add_co_i32 s4, s4, s5
	s_delay_alu instid0(SALU_CYCLE_1) | instskip(NEXT) | instid1(SALU_CYCLE_1)
	s_mul_hi_u32 s4, s20, s4
	s_mul_i32 s5, s4, s16
	s_add_co_i32 s6, s4, 1
	s_sub_co_i32 s5, s20, s5
	s_delay_alu instid0(SALU_CYCLE_1)
	s_sub_co_i32 s7, s5, s16
	s_cmp_ge_u32 s5, s16
	s_cselect_b32 s4, s6, s4
	s_cselect_b32 s5, s7, s5
	s_add_co_i32 s6, s4, 1
	s_cmp_ge_u32 s5, s16
	s_cselect_b32 s22, s6, s4
.LBB13_4:
	s_mul_i32 s24, s15, s14
	s_mov_b32 s4, exec_lo
	v_cmpx_gt_i32_e64 s24, v0
	s_cbranch_execz .LBB13_7
; %bb.5:
	s_abs_i32 s25, s3
	s_ashr_i32 s35, s12, 31
	s_wait_alu 0xfffe
	s_cvt_f32_u32 s28, s25
	s_mov_b32 s34, s12
	s_ashr_i32 s37, s13, 31
	s_mov_b32 s36, s13
	v_rcp_iflag_f32_e32 v1, s28
	s_clause 0x2
	s_load_b256 s[4:11], s[0:1], 0x0
	s_load_b128 s[28:31], s[0:1], 0x40
	s_load_b32 s40, s[0:1], 0x5c
	s_mul_u64 s[0:1], s[34:35], s[18:19]
	s_mul_u64 s[34:35], s[36:37], s[18:19]
	s_sub_co_i32 s19, 0, s25
	s_mul_u64 s[26:27], s[22:23], s[16:17]
	s_ashr_i32 s39, s14, 31
	s_mov_b32 s38, s14
	s_abs_i32 s14, s15
	v_readfirstlane_b32 s33, v1
	s_sub_nc_u64 s[20:21], s[20:21], s[26:27]
	s_mul_u64 s[36:37], s[26:27], s[38:39]
	s_ashr_i32 s17, s3, 31
	s_mov_b32 s16, s3
	s_mul_f32 s33, s33, 0x4f7ffffe
	s_cvt_f32_u32 s41, s14
	s_ashr_i32 s13, s15, 31
	s_mov_b32 s12, s15
	s_cvt_u32_f32 s18, s33
	s_wait_alu 0xfffe
	s_mul_u64 s[38:39], s[36:37], s[16:17]
	s_mul_u64 s[36:37], s[36:37], s[12:13]
	v_rcp_iflag_f32_e32 v1, s41
	s_mul_i32 s19, s19, s18
	s_xor_b32 s33, s13, s17
	s_mul_hi_u32 s19, s18, s19
	s_mul_i32 s23, s3, s2
	s_add_co_i32 s26, s18, s19
	s_mul_u64 s[18:19], s[20:21], s[16:17]
	s_mul_hi_u32 s27, s14, s26
	s_mov_b32 s22, 0
	s_mul_i32 s16, s27, s25
	v_readfirstlane_b32 s42, v1
	s_wait_alu 0xfffe
	s_sub_co_i32 s12, s14, s16
	s_add_co_i32 s16, s27, 1
	s_sub_co_i32 s41, s12, s25
	s_cmp_ge_u32 s12, s25
	s_wait_kmcnt 0x0
	s_add_nc_u64 s[10:11], s[10:11], s[36:37]
	s_wait_alu 0xfffe
	s_cselect_b32 s16, s16, s27
	s_cselect_b32 s12, s41, s12
	s_wait_alu 0xfffe
	s_add_co_i32 s27, s16, 1
	s_cmp_ge_u32 s12, s25
	s_load_b32 s12, s[28:29], 0x0
	s_cselect_b32 s27, s27, s16
	s_load_b32 s16, s[30:31], 0x0
	s_mul_f32 s30, s42, 0x4f7ffffe
	s_lshl_b64 s[0:1], s[0:1], 1
	s_xor_b32 s27, s27, s33
	s_add_nc_u64 s[4:5], s[4:5], s[0:1]
	s_lshl_b64 s[0:1], s[34:35], 1
	s_cvt_u32_f32 s30, s30
	s_sub_co_i32 s28, s27, s33
	s_add_nc_u64 s[6:7], s[6:7], s[0:1]
	s_sub_co_i32 s0, 0, s14
	s_wait_alu 0xfffe
	s_ashr_i32 s29, s28, 31
	s_mul_i32 s0, s0, s30
	s_mul_i32 s27, s23, s28
	s_wait_alu 0xfffe
	s_mul_u64 s[28:29], s[38:39], s[28:29]
	s_mul_hi_u32 s0, s30, s0
	s_wait_alu 0xfffe
	s_add_nc_u64 s[8:9], s[8:9], s[28:29]
	s_and_b32 s28, s40, 0xffff
	s_add_co_i32 s29, s30, s0
	s_sub_co_i32 s30, 0, s15
	s_sub_co_i32 s3, 0, s3
	s_mov_b32 s31, 0x43e00000
.LBB13_6:                               ; =>This Inner Loop Header: Depth=1
	v_ashrrev_i32_e32 v1, 31, v0
	v_mov_b32_e32 v9, 0
	s_delay_alu instid0(VALU_DEP_2) | instskip(NEXT) | instid1(VALU_DEP_1)
	v_lshlrev_b64_e32 v[2:3], 1, v[0:1]
	v_add_co_u32 v4, vcc_lo, s4, v2
	s_wait_alu 0xfffd
	s_delay_alu instid0(VALU_DEP_2)
	v_add_co_ci_u32_e64 v5, null, s5, v3, vcc_lo
	v_add_co_u32 v2, vcc_lo, s6, v2
	s_wait_alu 0xfffd
	v_add_co_ci_u32_e64 v3, null, s7, v3, vcc_lo
	global_load_u16 v4, v[4:5], off
	global_load_u16 v3, v[2:3], off
	v_sub_nc_u32_e32 v2, 0, v0
	v_mov_b32_e32 v10, 0
	s_delay_alu instid0(VALU_DEP_2) | instskip(SKIP_1) | instid1(VALU_DEP_1)
	v_max_i32_e32 v2, v0, v2
	s_wait_alu 0xfffe
	v_mul_hi_u32 v5, v2, s29
	s_delay_alu instid0(VALU_DEP_1) | instskip(NEXT) | instid1(VALU_DEP_1)
	v_mul_lo_u32 v6, v5, s14
	v_sub_nc_u32_e32 v2, v2, v6
	v_add_nc_u32_e32 v6, 1, v5
	s_delay_alu instid0(VALU_DEP_2) | instskip(SKIP_2) | instid1(VALU_DEP_2)
	v_subrev_nc_u32_e32 v7, s14, v2
	v_cmp_le_u32_e32 vcc_lo, s14, v2
	s_wait_alu 0xfffd
	v_dual_cndmask_b32 v5, v5, v6 :: v_dual_cndmask_b32 v2, v2, v7
	v_xor_b32_e32 v7, s13, v1
	s_delay_alu instid0(VALU_DEP_2) | instskip(NEXT) | instid1(VALU_DEP_3)
	v_add_nc_u32_e32 v6, 1, v5
	v_cmp_le_u32_e32 vcc_lo, s14, v2
	s_wait_alu 0xfffd
	s_delay_alu instid0(VALU_DEP_2) | instskip(NEXT) | instid1(VALU_DEP_1)
	v_cndmask_b32_e32 v2, v5, v6, vcc_lo
	v_xor_b32_e32 v2, v2, v7
	s_delay_alu instid0(VALU_DEP_1) | instskip(NEXT) | instid1(VALU_DEP_1)
	v_sub_nc_u32_e32 v5, v2, v7
	v_mad_co_u64_u32 v[1:2], null, s30, v5, v[0:1]
	v_mul_lo_u32 v2, v5, s15
	v_mul_lo_u32 v5, s27, v5
	s_delay_alu instid0(VALU_DEP_3) | instskip(SKIP_1) | instid1(VALU_DEP_3)
	v_ashrrev_i32_e32 v6, 31, v1
	v_mul_lo_u32 v13, v1, s2
	v_ashrrev_i32_e32 v11, 31, v5
	v_add_co_u32 v5, s0, s8, v5
	s_delay_alu instid0(VALU_DEP_4) | instskip(SKIP_3) | instid1(VALU_DEP_3)
	v_sub_nc_u32_e32 v7, v6, v2
	v_mul_lo_u32 v2, v2, s2
	s_wait_alu 0xf1ff
	v_add_co_ci_u32_e64 v11, null, s9, v11, s0
	v_add_nc_u32_e32 v7, v0, v7
	v_add_nc_u32_e32 v0, s28, v0
	s_delay_alu instid0(VALU_DEP_2) | instskip(SKIP_1) | instid1(VALU_DEP_2)
	v_xor_b32_e32 v7, v7, v6
	v_xor_b32_e32 v6, s17, v6
	v_mul_hi_u32 v8, v7, s26
	s_delay_alu instid0(VALU_DEP_1) | instskip(NEXT) | instid1(VALU_DEP_1)
	v_mul_lo_u32 v12, v8, s25
	v_sub_nc_u32_e32 v7, v7, v12
	v_add_nc_u32_e32 v12, 1, v8
	s_delay_alu instid0(VALU_DEP_2) | instskip(SKIP_1) | instid1(VALU_DEP_2)
	v_cmp_le_u32_e32 vcc_lo, s25, v7
	s_wait_alu 0xfffd
	v_cndmask_b32_e32 v8, v8, v12, vcc_lo
	v_subrev_nc_u32_e32 v12, s25, v7
	s_delay_alu instid0(VALU_DEP_1) | instskip(NEXT) | instid1(VALU_DEP_3)
	v_cndmask_b32_e32 v7, v7, v12, vcc_lo
	v_add_nc_u32_e32 v12, 1, v8
	s_delay_alu instid0(VALU_DEP_2) | instskip(SKIP_1) | instid1(VALU_DEP_1)
	v_cmp_le_u32_e64 s1, s25, v7
	s_wait_alu 0xf1ff
	v_cndmask_b32_e64 v7, v8, v12, s1
	v_add_co_u32 v24, s1, s10, v2
	s_delay_alu instid0(VALU_DEP_2) | instskip(NEXT) | instid1(VALU_DEP_1)
	v_xor_b32_e32 v7, v7, v6
	v_sub_nc_u32_e32 v6, v7, v6
	s_wait_loadcnt 0x0
	v_lshlrev_b32_e32 v3, 16, v3
	s_wait_kmcnt 0x0
	s_delay_alu instid0(VALU_DEP_1) | instskip(SKIP_1) | instid1(VALU_DEP_2)
	v_div_scale_f32 v15, null, s16, s16, v3
	v_div_scale_f32 v21, s0, v3, s16, v3
	v_rcp_f32_e32 v17, v15
	s_delay_alu instid0(TRANS32_DEP_1) | instskip(NEXT) | instid1(VALU_DEP_1)
	v_fma_f32 v19, -v15, v17, 1.0
	v_dual_fmac_f32 v17, v19, v17 :: v_dual_lshlrev_b32 v4, 16, v4
	s_delay_alu instid0(VALU_DEP_1) | instskip(SKIP_1) | instid1(VALU_DEP_3)
	v_div_scale_f32 v14, null, s12, s12, v4
	v_div_scale_f32 v20, vcc_lo, v4, s12, v4
	v_mul_f32_e32 v12, v21, v17
	s_delay_alu instid0(VALU_DEP_3) | instskip(SKIP_1) | instid1(VALU_DEP_2)
	v_rcp_f32_e32 v16, v14
	v_ashrrev_i32_e32 v19, 31, v13
	v_fma_f32 v23, -v15, v12, v21
	s_delay_alu instid0(VALU_DEP_1) | instskip(NEXT) | instid1(TRANS32_DEP_1)
	v_fmac_f32_e32 v12, v23, v17
	v_fma_f32 v18, -v14, v16, 1.0
	s_delay_alu instid0(VALU_DEP_2) | instskip(NEXT) | instid1(VALU_DEP_2)
	v_fma_f32 v7, -v15, v12, v21
	v_fmac_f32_e32 v16, v18, v16
	v_ashrrev_i32_e32 v18, 31, v2
	v_mad_co_u64_u32 v[1:2], null, s3, v6, v[1:2]
	v_mul_lo_u32 v6, s23, v6
	s_delay_alu instid0(VALU_DEP_4) | instskip(SKIP_3) | instid1(VALU_DEP_3)
	v_mul_f32_e32 v8, v20, v16
	s_wait_alu 0xf1ff
	v_add_co_ci_u32_e64 v18, null, s11, v18, s1
	v_cmp_le_i32_e64 s1, s24, v0
	v_fma_f32 v22, -v14, v8, v20
	s_or_b32 s22, s1, s22
	s_delay_alu instid0(VALU_DEP_1) | instskip(NEXT) | instid1(VALU_DEP_1)
	v_fmac_f32_e32 v8, v22, v16
	v_fma_f32 v2, -v14, v8, v20
	v_ashrrev_i32_e32 v14, 31, v1
	s_wait_alu 0xfffd
	s_delay_alu instid0(VALU_DEP_2)
	v_div_fmas_f32 v2, v2, v16, v8
	s_mov_b32 vcc_lo, s0
	s_wait_alu 0xfffe
	v_div_fmas_f32 v7, v7, v17, v12
	v_add_co_u32 v8, vcc_lo, v24, v13
	v_ashrrev_i32_e32 v13, 31, v6
	s_wait_alu 0xfffd
	v_add_co_ci_u32_e64 v12, null, v18, v19, vcc_lo
	v_div_fixup_f32 v2, v2, s12, v4
	v_add_co_u32 v4, vcc_lo, v5, v6
	s_wait_alu 0xfffd
	v_add_co_ci_u32_e64 v5, null, v11, v13, vcc_lo
	v_div_fixup_f32 v3, v7, s16, v3
	s_delay_alu instid0(VALU_DEP_3)
	v_add_co_u32 v4, vcc_lo, v4, s18
	v_med3_num_f32 v6, v2, s31, 0xc3e00000
	s_wait_alu 0xfffd
	v_add_co_ci_u32_e64 v5, null, s19, v5, vcc_lo
	v_cmp_nlg_f32_e64 vcc_lo, 0x7f800000, |v2|
	v_med3_num_f32 v7, v3, s31, 0xc3e00000
	s_wait_alu 0xfffd
	v_cndmask_b32_e32 v6, v6, v2, vcc_lo
	v_cmp_nlg_f32_e64 vcc_lo, 0x7f800000, |v3|
	s_delay_alu instid0(VALU_DEP_2)
	v_cvt_pk_fp8_f32 v9, v6, v6
	s_wait_alu 0xfffd
	v_cndmask_b32_e32 v3, v7, v3, vcc_lo
	v_add_co_u32 v1, vcc_lo, v4, v1
	s_wait_alu 0xfffd
	v_add_co_ci_u32_e64 v2, null, v5, v14, vcc_lo
	s_delay_alu instid0(VALU_DEP_3)
	v_cvt_pk_fp8_f32 v10, v3, v3
	v_add_co_u32 v3, vcc_lo, v8, s20
	s_wait_alu 0xfffd
	v_add_co_ci_u32_e64 v4, null, s21, v12, vcc_lo
	global_store_b8 v[1:2], v9, off
	global_store_b8 v[3:4], v10, off
	s_and_not1_b32 exec_lo, exec_lo, s22
	s_cbranch_execnz .LBB13_6
.LBB13_7:
	s_endpgm
.LBB13_8:
                                        ; implicit-def: $sgpr22_sgpr23
	s_branch .LBB13_3
	.section	.rodata,"a",@progbits
	.p2align	6, 0x0
	.amdhsa_kernel _ZN4vllm24reshape_and_cache_kernelI14__hip_bfloat16hLNS_18Fp8KVCacheDataTypeE1EEEvPKT_S5_PT0_S7_PKliiiiiiPKfSB_
		.amdhsa_group_segment_fixed_size 0
		.amdhsa_private_segment_fixed_size 0
		.amdhsa_kernarg_size 336
		.amdhsa_user_sgpr_count 2
		.amdhsa_user_sgpr_dispatch_ptr 0
		.amdhsa_user_sgpr_queue_ptr 0
		.amdhsa_user_sgpr_kernarg_segment_ptr 1
		.amdhsa_user_sgpr_dispatch_id 0
		.amdhsa_user_sgpr_private_segment_size 0
		.amdhsa_wavefront_size32 1
		.amdhsa_uses_dynamic_stack 0
		.amdhsa_enable_private_segment 0
		.amdhsa_system_sgpr_workgroup_id_x 1
		.amdhsa_system_sgpr_workgroup_id_y 0
		.amdhsa_system_sgpr_workgroup_id_z 0
		.amdhsa_system_sgpr_workgroup_info 0
		.amdhsa_system_vgpr_workitem_id 0
		.amdhsa_next_free_vgpr 25
		.amdhsa_next_free_sgpr 43
		.amdhsa_reserve_vcc 1
		.amdhsa_float_round_mode_32 0
		.amdhsa_float_round_mode_16_64 0
		.amdhsa_float_denorm_mode_32 3
		.amdhsa_float_denorm_mode_16_64 3
		.amdhsa_fp16_overflow 0
		.amdhsa_workgroup_processor_mode 1
		.amdhsa_memory_ordered 1
		.amdhsa_forward_progress 1
		.amdhsa_inst_pref_size 16
		.amdhsa_round_robin_scheduling 0
		.amdhsa_exception_fp_ieee_invalid_op 0
		.amdhsa_exception_fp_denorm_src 0
		.amdhsa_exception_fp_ieee_div_zero 0
		.amdhsa_exception_fp_ieee_overflow 0
		.amdhsa_exception_fp_ieee_underflow 0
		.amdhsa_exception_fp_ieee_inexact 0
		.amdhsa_exception_int_div_zero 0
	.end_amdhsa_kernel
	.section	.text._ZN4vllm24reshape_and_cache_kernelI14__hip_bfloat16hLNS_18Fp8KVCacheDataTypeE1EEEvPKT_S5_PT0_S7_PKliiiiiiPKfSB_,"axG",@progbits,_ZN4vllm24reshape_and_cache_kernelI14__hip_bfloat16hLNS_18Fp8KVCacheDataTypeE1EEEvPKT_S5_PT0_S7_PKliiiiiiPKfSB_,comdat
.Lfunc_end13:
	.size	_ZN4vllm24reshape_and_cache_kernelI14__hip_bfloat16hLNS_18Fp8KVCacheDataTypeE1EEEvPKT_S5_PT0_S7_PKliiiiiiPKfSB_, .Lfunc_end13-_ZN4vllm24reshape_and_cache_kernelI14__hip_bfloat16hLNS_18Fp8KVCacheDataTypeE1EEEvPKT_S5_PT0_S7_PKliiiiiiPKfSB_
                                        ; -- End function
	.set _ZN4vllm24reshape_and_cache_kernelI14__hip_bfloat16hLNS_18Fp8KVCacheDataTypeE1EEEvPKT_S5_PT0_S7_PKliiiiiiPKfSB_.num_vgpr, 25
	.set _ZN4vllm24reshape_and_cache_kernelI14__hip_bfloat16hLNS_18Fp8KVCacheDataTypeE1EEEvPKT_S5_PT0_S7_PKliiiiiiPKfSB_.num_agpr, 0
	.set _ZN4vllm24reshape_and_cache_kernelI14__hip_bfloat16hLNS_18Fp8KVCacheDataTypeE1EEEvPKT_S5_PT0_S7_PKliiiiiiPKfSB_.numbered_sgpr, 43
	.set _ZN4vllm24reshape_and_cache_kernelI14__hip_bfloat16hLNS_18Fp8KVCacheDataTypeE1EEEvPKT_S5_PT0_S7_PKliiiiiiPKfSB_.num_named_barrier, 0
	.set _ZN4vllm24reshape_and_cache_kernelI14__hip_bfloat16hLNS_18Fp8KVCacheDataTypeE1EEEvPKT_S5_PT0_S7_PKliiiiiiPKfSB_.private_seg_size, 0
	.set _ZN4vllm24reshape_and_cache_kernelI14__hip_bfloat16hLNS_18Fp8KVCacheDataTypeE1EEEvPKT_S5_PT0_S7_PKliiiiiiPKfSB_.uses_vcc, 1
	.set _ZN4vllm24reshape_and_cache_kernelI14__hip_bfloat16hLNS_18Fp8KVCacheDataTypeE1EEEvPKT_S5_PT0_S7_PKliiiiiiPKfSB_.uses_flat_scratch, 0
	.set _ZN4vllm24reshape_and_cache_kernelI14__hip_bfloat16hLNS_18Fp8KVCacheDataTypeE1EEEvPKT_S5_PT0_S7_PKliiiiiiPKfSB_.has_dyn_sized_stack, 0
	.set _ZN4vllm24reshape_and_cache_kernelI14__hip_bfloat16hLNS_18Fp8KVCacheDataTypeE1EEEvPKT_S5_PT0_S7_PKliiiiiiPKfSB_.has_recursion, 0
	.set _ZN4vllm24reshape_and_cache_kernelI14__hip_bfloat16hLNS_18Fp8KVCacheDataTypeE1EEEvPKT_S5_PT0_S7_PKliiiiiiPKfSB_.has_indirect_call, 0
	.section	.AMDGPU.csdata,"",@progbits
; Kernel info:
; codeLenInByte = 2044
; TotalNumSgprs: 45
; NumVgprs: 25
; ScratchSize: 0
; MemoryBound: 0
; FloatMode: 240
; IeeeMode: 1
; LDSByteSize: 0 bytes/workgroup (compile time only)
; SGPRBlocks: 0
; VGPRBlocks: 3
; NumSGPRsForWavesPerEU: 45
; NumVGPRsForWavesPerEU: 25
; Occupancy: 16
; WaveLimiterHint : 1
; COMPUTE_PGM_RSRC2:SCRATCH_EN: 0
; COMPUTE_PGM_RSRC2:USER_SGPR: 2
; COMPUTE_PGM_RSRC2:TRAP_HANDLER: 0
; COMPUTE_PGM_RSRC2:TGID_X_EN: 1
; COMPUTE_PGM_RSRC2:TGID_Y_EN: 0
; COMPUTE_PGM_RSRC2:TGID_Z_EN: 0
; COMPUTE_PGM_RSRC2:TIDIG_COMP_CNT: 0
	.section	.text._ZN4vllm30reshape_and_cache_flash_kernelIffLNS_18Fp8KVCacheDataTypeE0EEEvPKT_S4_PT0_S6_PKlllllliiiPKfSA_,"axG",@progbits,_ZN4vllm30reshape_and_cache_flash_kernelIffLNS_18Fp8KVCacheDataTypeE0EEEvPKT_S4_PT0_S6_PKlllllliiiPKfSA_,comdat
	.protected	_ZN4vllm30reshape_and_cache_flash_kernelIffLNS_18Fp8KVCacheDataTypeE0EEEvPKT_S4_PT0_S6_PKlllllliiiPKfSA_ ; -- Begin function _ZN4vllm30reshape_and_cache_flash_kernelIffLNS_18Fp8KVCacheDataTypeE0EEEvPKT_S4_PT0_S6_PKlllllliiiPKfSA_
	.globl	_ZN4vllm30reshape_and_cache_flash_kernelIffLNS_18Fp8KVCacheDataTypeE0EEEvPKT_S4_PT0_S6_PKlllllliiiPKfSA_
	.p2align	8
	.type	_ZN4vllm30reshape_and_cache_flash_kernelIffLNS_18Fp8KVCacheDataTypeE0EEEvPKT_S4_PT0_S6_PKlllllliiiPKfSA_,@function
_ZN4vllm30reshape_and_cache_flash_kernelIffLNS_18Fp8KVCacheDataTypeE0EEEvPKT_S4_PT0_S6_PKlllllliiiPKfSA_: ; @_ZN4vllm30reshape_and_cache_flash_kernelIffLNS_18Fp8KVCacheDataTypeE0EEEvPKT_S4_PT0_S6_PKlllllliiiPKfSA_
; %bb.0:
	s_load_b64 s[4:5], s[0:1], 0x20
	s_mov_b32 s2, ttmp9
	s_mov_b32 s3, 0
	s_delay_alu instid0(SALU_CYCLE_1)
	s_lshl_b64 s[6:7], s[2:3], 3
	s_wait_kmcnt 0x0
	s_add_nc_u64 s[4:5], s[4:5], s[6:7]
	s_load_b64 s[24:25], s[4:5], 0x0
	s_wait_kmcnt 0x0
	v_cmp_lt_i64_e64 s4, s[24:25], 0
	s_and_b32 vcc_lo, exec_lo, s4
	s_cbranch_vccnz .LBB14_71
; %bb.1:
	s_load_b96 s[20:22], s[0:1], 0x50
	s_wait_kmcnt 0x0
	s_ashr_i32 s23, s22, 31
	s_delay_alu instid0(SALU_CYCLE_1) | instskip(SKIP_1) | instid1(SALU_CYCLE_1)
	s_or_b64 s[4:5], s[24:25], s[22:23]
	s_mov_b32 s4, s3
	s_cmp_lg_u64 s[4:5], 0
	s_cbranch_scc0 .LBB14_72
; %bb.2:
	s_ashr_i32 s4, s23, 31
	s_mov_b32 s13, 0
	s_mov_b32 s5, s4
	s_delay_alu instid0(SALU_CYCLE_1) | instskip(NEXT) | instid1(SALU_CYCLE_1)
	s_add_nc_u64 s[6:7], s[22:23], s[4:5]
	s_xor_b64 s[6:7], s[6:7], s[4:5]
	s_delay_alu instid0(SALU_CYCLE_1) | instskip(SKIP_2) | instid1(SALU_CYCLE_2)
	s_cvt_f32_u32 s8, s6
	s_cvt_f32_u32 s9, s7
	s_sub_nc_u64 s[10:11], 0, s[6:7]
	s_fmamk_f32 s8, s9, 0x4f800000, s8
	s_delay_alu instid0(SALU_CYCLE_3) | instskip(NEXT) | instid1(TRANS32_DEP_1)
	v_s_rcp_f32 s8, s8
	s_mul_f32 s8, s8, 0x5f7ffffc
	s_wait_alu 0xfffe
	s_delay_alu instid0(SALU_CYCLE_2) | instskip(SKIP_1) | instid1(SALU_CYCLE_2)
	s_mul_f32 s9, s8, 0x2f800000
	s_wait_alu 0xfffe
	s_trunc_f32 s9, s9
	s_wait_alu 0xfffe
	s_delay_alu instid0(SALU_CYCLE_2) | instskip(SKIP_2) | instid1(SALU_CYCLE_1)
	s_fmamk_f32 s8, s9, 0xcf800000, s8
	s_cvt_u32_f32 s9, s9
	s_wait_alu 0xfffe
	s_cvt_u32_f32 s8, s8
	s_wait_alu 0xfffe
	s_delay_alu instid0(SALU_CYCLE_2) | instskip(NEXT) | instid1(SALU_CYCLE_1)
	s_mul_u64 s[14:15], s[10:11], s[8:9]
	s_mul_hi_u32 s17, s8, s15
	s_mul_i32 s16, s8, s15
	s_mul_hi_u32 s12, s8, s14
	s_mul_i32 s19, s9, s14
	s_add_nc_u64 s[16:17], s[12:13], s[16:17]
	s_mul_hi_u32 s18, s9, s14
	s_mul_hi_u32 s26, s9, s15
	s_add_co_u32 s12, s16, s19
	s_add_co_ci_u32 s12, s17, s18
	s_mul_i32 s14, s9, s15
	s_add_co_ci_u32 s15, s26, 0
	s_delay_alu instid0(SALU_CYCLE_1) | instskip(NEXT) | instid1(SALU_CYCLE_1)
	s_add_nc_u64 s[14:15], s[12:13], s[14:15]
	s_add_co_u32 s8, s8, s14
	s_cselect_b32 s12, -1, 0
	s_delay_alu instid0(SALU_CYCLE_1) | instskip(SKIP_3) | instid1(SALU_CYCLE_1)
	s_cmp_lg_u32 s12, 0
	s_add_co_ci_u32 s9, s9, s15
	s_wait_alu 0xfffe
	s_mul_u64 s[10:11], s[10:11], s[8:9]
	s_mul_hi_u32 s15, s8, s11
	s_mul_i32 s14, s8, s11
	s_mul_hi_u32 s12, s8, s10
	s_mul_i32 s17, s9, s10
	s_add_nc_u64 s[14:15], s[12:13], s[14:15]
	s_mul_hi_u32 s16, s9, s10
	s_mul_hi_u32 s18, s9, s11
	s_mul_i32 s10, s9, s11
	s_add_co_u32 s11, s14, s17
	s_add_co_ci_u32 s12, s15, s16
	s_add_co_ci_u32 s11, s18, 0
	s_delay_alu instid0(SALU_CYCLE_1) | instskip(NEXT) | instid1(SALU_CYCLE_1)
	s_add_nc_u64 s[10:11], s[12:13], s[10:11]
	s_add_co_u32 s16, s8, s10
	s_cselect_b32 s8, -1, 0
	s_wait_alu 0xfffe
	s_cmp_lg_u32 s8, 0
	s_add_co_ci_u32 s17, s9, s11
	s_ashr_i32 s8, s25, 31
	s_wait_alu 0xfffe
	s_mov_b32 s9, s8
	s_wait_alu 0xfffe
	s_add_nc_u64 s[10:11], s[24:25], s[8:9]
	s_delay_alu instid0(SALU_CYCLE_1) | instskip(NEXT) | instid1(SALU_CYCLE_1)
	s_xor_b64 s[10:11], s[10:11], s[8:9]
	s_mul_hi_u32 s15, s10, s17
	s_mul_i32 s14, s10, s17
	s_mul_hi_u32 s12, s10, s16
	s_mul_i32 s26, s11, s16
	s_add_nc_u64 s[14:15], s[12:13], s[14:15]
	s_mul_hi_u32 s19, s11, s16
	s_mul_hi_u32 s18, s11, s17
	s_add_co_u32 s12, s14, s26
	s_add_co_ci_u32 s12, s15, s19
	s_mul_i32 s16, s11, s17
	s_add_co_ci_u32 s17, s18, 0
	s_delay_alu instid0(SALU_CYCLE_1) | instskip(NEXT) | instid1(SALU_CYCLE_1)
	s_add_nc_u64 s[14:15], s[12:13], s[16:17]
	s_mul_u64 s[16:17], s[6:7], s[14:15]
	s_delay_alu instid0(SALU_CYCLE_1)
	s_sub_co_u32 s10, s10, s16
	s_cselect_b32 s12, -1, 0
	s_sub_co_i32 s16, s11, s17
	s_cmp_lg_u32 s12, 0
	s_sub_co_ci_u32 s16, s16, s7
	s_sub_co_u32 s18, s10, s6
	s_cselect_b32 s19, -1, 0
	s_delay_alu instid0(SALU_CYCLE_1) | instskip(SKIP_1) | instid1(SALU_CYCLE_1)
	s_cmp_lg_u32 s19, 0
	s_sub_co_ci_u32 s16, s16, 0
	s_cmp_ge_u32 s16, s7
	s_cselect_b32 s26, -1, 0
	s_cmp_ge_u32 s18, s6
	s_add_nc_u64 s[18:19], s[14:15], 1
	s_cselect_b32 s27, -1, 0
	s_cmp_eq_u32 s16, s7
	s_cselect_b32 s16, s27, s26
	s_add_nc_u64 s[26:27], s[14:15], 2
	s_cmp_lg_u32 s16, 0
	s_cselect_b32 s16, s26, s18
	s_cselect_b32 s18, s27, s19
	s_cmp_lg_u32 s12, 0
	s_sub_co_ci_u32 s11, s11, s17
	s_delay_alu instid0(SALU_CYCLE_1)
	s_cmp_ge_u32 s11, s7
	s_cselect_b32 s12, -1, 0
	s_cmp_ge_u32 s10, s6
	s_cselect_b32 s6, -1, 0
	s_cmp_eq_u32 s11, s7
	s_cselect_b32 s6, s6, s12
	s_delay_alu instid0(SALU_CYCLE_1) | instskip(SKIP_3) | instid1(SALU_CYCLE_1)
	s_cmp_lg_u32 s6, 0
	s_cselect_b32 s7, s18, s15
	s_cselect_b32 s6, s16, s14
	s_xor_b64 s[4:5], s[8:9], s[4:5]
	s_xor_b64 s[6:7], s[6:7], s[4:5]
	s_delay_alu instid0(SALU_CYCLE_1)
	s_sub_nc_u64 s[26:27], s[6:7], s[4:5]
	s_load_b256 s[4:11], s[0:1], 0x0
	s_cbranch_execnz .LBB14_4
.LBB14_3:
	v_cvt_f32_u32_e32 v1, s22
	s_sub_co_i32 s13, 0, s22
	s_mov_b32 s27, 0
	s_delay_alu instid0(VALU_DEP_1) | instskip(NEXT) | instid1(TRANS32_DEP_1)
	v_rcp_iflag_f32_e32 v1, v1
	v_mul_f32_e32 v1, 0x4f7ffffe, v1
	s_delay_alu instid0(VALU_DEP_1) | instskip(NEXT) | instid1(VALU_DEP_1)
	v_cvt_u32_f32_e32 v1, v1
	v_readfirstlane_b32 s12, v1
	s_mul_i32 s13, s13, s12
	s_delay_alu instid0(SALU_CYCLE_1) | instskip(NEXT) | instid1(SALU_CYCLE_1)
	s_mul_hi_u32 s13, s12, s13
	s_add_co_i32 s12, s12, s13
	s_delay_alu instid0(SALU_CYCLE_1) | instskip(NEXT) | instid1(SALU_CYCLE_1)
	s_mul_hi_u32 s12, s24, s12
	s_mul_i32 s13, s12, s22
	s_add_co_i32 s14, s12, 1
	s_sub_co_i32 s13, s24, s13
	s_delay_alu instid0(SALU_CYCLE_1)
	s_sub_co_i32 s15, s13, s22
	s_cmp_ge_u32 s13, s22
	s_cselect_b32 s12, s14, s12
	s_cselect_b32 s13, s15, s13
	s_add_co_i32 s14, s12, 1
	s_cmp_ge_u32 s13, s22
	s_cselect_b32 s26, s14, s12
.LBB14_4:
	s_clause 0x2
	s_load_b256 s[12:19], s[0:1], 0x28
	s_load_b64 s[28:29], s[0:1], 0x48
	s_load_b32 s30, s[0:1], 0x7c
	s_mul_u64 s[0:1], s[26:27], s[22:23]
	s_ashr_i32 s23, s21, 31
	s_sub_nc_u64 s[0:1], s[24:25], s[0:1]
	s_mov_b32 s22, s21
	s_wait_kmcnt 0x0
	s_mul_u64 s[18:19], s[18:19], s[2:3]
	s_mul_u64 s[12:13], s[26:27], s[12:13]
	;; [unrolled: 1-line block ×4, first 2 shown]
	s_lshl_b64 s[18:19], s[18:19], 2
	s_lshl_b64 s[12:13], s[12:13], 2
	;; [unrolled: 1-line block ×4, first 2 shown]
	s_add_nc_u64 s[18:19], s[4:5], s[18:19]
	s_add_nc_u64 s[0:1], s[8:9], s[12:13]
	;; [unrolled: 1-line block ×3, first 2 shown]
	s_and_b32 s26, s30, 0xffff
	s_wait_alu 0xfffe
	s_cmp_lg_u64 s[16:17], s[22:23]
	s_add_nc_u64 s[2:3], s[6:7], s[2:3]
	s_add_nc_u64 s[6:7], s[0:1], s[14:15]
	;; [unrolled: 1-line block ×3, first 2 shown]
	s_mov_b32 s0, -1
	s_cbranch_scc0 .LBB14_39
; %bb.5:
	v_lshrrev_b32_e32 v24, 5, v0
	s_mov_b32 s27, exec_lo
	s_delay_alu instid0(VALU_DEP_1)
	v_cmpx_gt_i32_e64 s20, v24
	s_cbranch_execz .LBB14_38
; %bb.6:
	v_mad_co_u64_u32 v[4:5], null, s16, v24, 0
	v_and_b32_e32 v25, 31, v0
	s_add_nc_u64 s[0:1], s[14:15], s[12:13]
	s_and_b32 s24, s21, 3
	v_mul_lo_u32 v3, s21, v24
	s_lshr_b32 s22, s26, 5
	s_mov_b32 s23, 0
	s_delay_alu instid0(VALU_DEP_3)
	v_mov_b32_e32 v1, v5
	s_wait_alu 0xfffe
	s_cmp_eq_u32 s24, 0
	v_lshlrev_b32_e32 v31, 2, v25
	s_mul_u64 s[24:25], s[16:17], s[22:23]
	s_cselect_b32 s30, -1, 0
	v_mad_co_u64_u32 v[1:2], null, s17, v24, v[1:2]
	v_mov_b32_e32 v2, 0
	s_ashr_i32 s28, s21, 2
	s_wait_alu 0xfffe
	s_lshl_b64 s[24:25], s[24:25], 2
	s_mul_i32 s29, s21, s22
	s_xor_b32 s30, s30, -1
	v_cmp_gt_i32_e32 vcc_lo, s28, v25
	v_dual_mov_b32 v5, v1 :: v_dual_lshlrev_b32 v26, 4, v25
	s_delay_alu instid0(VALU_DEP_1) | instskip(NEXT) | instid1(VALU_DEP_1)
	v_lshlrev_b64_e32 v[4:5], 2, v[4:5]
	v_add_co_u32 v1, s0, s0, v4
	s_wait_alu 0xf1ff
	s_delay_alu instid0(VALU_DEP_2)
	v_add_co_ci_u32_e64 v4, null, s1, v5, s0
	v_add_co_u32 v27, s0, s18, v26
	s_wait_alu 0xf1ff
	v_add_co_ci_u32_e64 v28, null, s19, 0, s0
	v_add_co_u32 v9, s0, v1, v26
	s_wait_alu 0xf1ff
	;; [unrolled: 3-line block ×7, first 2 shown]
	v_add_co_ci_u32_e64 v12, null, s11, v4, s0
	s_branch .LBB14_9
.LBB14_7:                               ;   in Loop: Header=BB14_9 Depth=1
	s_or_b32 exec_lo, exec_lo, s33
.LBB14_8:                               ;   in Loop: Header=BB14_9 Depth=1
	s_delay_alu instid0(SALU_CYCLE_1)
	s_or_b32 exec_lo, exec_lo, s31
	v_add_co_u32 v7, s0, v7, s24
	v_add_nc_u32_e32 v24, s22, v24
	s_wait_alu 0xf1ff
	v_add_co_ci_u32_e64 v8, null, s25, v8, s0
	v_add_co_u32 v5, s0, v5, s24
	s_wait_alu 0xf1ff
	v_add_co_ci_u32_e64 v6, null, s25, v6, s0
	v_add_co_u32 v9, s0, v9, s24
	s_wait_alu 0xf1ff
	v_add_co_ci_u32_e64 v10, null, s25, v10, s0
	v_cmp_le_i32_e64 s0, s20, v24
	v_add_co_u32 v11, s1, v11, s24
	v_add_nc_u32_e32 v3, s29, v3
	s_wait_alu 0xf1ff
	v_add_co_ci_u32_e64 v12, null, s25, v12, s1
	s_or_b32 s23, s0, s23
	s_wait_alu 0xfffe
	s_and_not1_b32 exec_lo, exec_lo, s23
	s_cbranch_execz .LBB14_38
.LBB14_9:                               ; =>This Loop Header: Depth=1
                                        ;     Child Loop BB14_14 Depth 2
                                        ;     Child Loop BB14_17 Depth 2
	;; [unrolled: 1-line block ×6, first 2 shown]
	v_mul_lo_u32 v13, v24, s21
	v_mad_co_u64_u32 v[15:16], null, s16, v24, 0
	v_ashrrev_i32_e32 v4, 31, v3
	s_delay_alu instid0(VALU_DEP_3) | instskip(NEXT) | instid1(VALU_DEP_3)
	v_ashrrev_i32_e32 v14, 31, v13
	v_mov_b32_e32 v1, v16
	s_delay_alu instid0(VALU_DEP_2) | instskip(NEXT) | instid1(VALU_DEP_2)
	v_lshlrev_b64_e32 v[17:18], 2, v[13:14]
	v_mad_co_u64_u32 v[22:23], null, s17, v24, v[1:2]
	v_lshlrev_b64_e32 v[13:14], 2, v[3:4]
	s_delay_alu instid0(VALU_DEP_3) | instskip(SKIP_1) | instid1(VALU_DEP_4)
	v_add_co_u32 v20, s0, s18, v17
	s_wait_alu 0xf1ff
	v_add_co_ci_u32_e64 v21, null, s19, v18, s0
	s_delay_alu instid0(VALU_DEP_2) | instskip(NEXT) | instid1(VALU_DEP_1)
	v_dual_mov_b32 v16, v22 :: v_dual_and_b32 v1, 15, v20
	v_cmp_ne_u64_e64 s0, 0, v[1:2]
	s_or_b32 s0, s30, s0
	s_wait_alu 0xfffe
	s_and_saveexec_b32 s1, s0
	s_wait_alu 0xfffe
	s_xor_b32 s31, exec_lo, s1
	s_cbranch_execz .LBB14_19
; %bb.10:                               ;   in Loop: Header=BB14_9 Depth=1
	v_sub_nc_u32_e32 v1, 0, v20
	s_mov_b32 s1, exec_lo
	s_delay_alu instid0(VALU_DEP_1) | instskip(NEXT) | instid1(VALU_DEP_1)
	v_bfe_u32 v1, v1, 2, 2
	v_min_i32_e32 v19, s21, v1
	s_delay_alu instid0(VALU_DEP_1)
	v_cmpx_lt_i32_e64 v25, v19
	s_cbranch_execz .LBB14_12
; %bb.11:                               ;   in Loop: Header=BB14_9 Depth=1
	v_add_co_u32 v20, s0, v20, v31
	s_wait_alu 0xf1ff
	v_add_co_ci_u32_e64 v21, null, 0, v21, s0
	global_load_b32 v1, v[20:21], off
	v_lshlrev_b64_e32 v[20:21], 2, v[15:16]
	s_delay_alu instid0(VALU_DEP_1) | instskip(SKIP_1) | instid1(VALU_DEP_2)
	v_add_co_u32 v4, s0, s6, v20
	s_wait_alu 0xf1ff
	v_add_co_ci_u32_e64 v21, null, s7, v21, s0
	s_delay_alu instid0(VALU_DEP_2) | instskip(SKIP_1) | instid1(VALU_DEP_2)
	v_add_co_u32 v20, s0, v4, v31
	s_wait_alu 0xf1ff
	v_add_co_ci_u32_e64 v21, null, 0, v21, s0
	s_wait_loadcnt 0x0
	global_store_b32 v[20:21], v1, off
.LBB14_12:                              ;   in Loop: Header=BB14_9 Depth=1
	s_wait_alu 0xfffe
	s_or_b32 exec_lo, exec_lo, s1
	v_sub_nc_u32_e32 v1, s21, v19
	v_ashrrev_i32_e32 v20, 31, v19
	s_mov_b32 s33, exec_lo
	s_delay_alu instid0(VALU_DEP_2) | instskip(NEXT) | instid1(VALU_DEP_2)
	v_ashrrev_i32_e32 v4, 31, v1
	v_lshlrev_b64_e32 v[19:20], 2, v[19:20]
	s_delay_alu instid0(VALU_DEP_2) | instskip(NEXT) | instid1(VALU_DEP_1)
	v_lshrrev_b32_e32 v4, 30, v4
	v_add_nc_u32_e32 v4, v1, v4
	s_delay_alu instid0(VALU_DEP_1) | instskip(NEXT) | instid1(VALU_DEP_1)
	v_ashrrev_i32_e32 v4, 2, v4
	v_cmpx_lt_i32_e64 v25, v4
	s_cbranch_execz .LBB14_15
; %bb.13:                               ;   in Loop: Header=BB14_9 Depth=1
	v_add_co_u32 v23, s0, v27, v13
	s_wait_alu 0xf1ff
	v_add_co_ci_u32_e64 v32, null, v28, v14, s0
	v_dual_mov_b32 v22, v8 :: v_dual_mov_b32 v21, v7
	v_mov_b32_e32 v33, v25
	s_mov_b32 s34, 0
.LBB14_14:                              ;   Parent Loop BB14_9 Depth=1
                                        ; =>  This Inner Loop Header: Depth=2
	v_add_co_u32 v34, s0, v23, v19
	s_wait_alu 0xf1ff
	v_add_co_ci_u32_e64 v35, null, v32, v20, s0
	v_add_nc_u32_e32 v33, 32, v33
	v_add_co_u32 v38, s0, v21, v19
	global_load_b128 v[34:37], v[34:35], off
	s_wait_alu 0xf1ff
	v_add_co_ci_u32_e64 v39, null, v22, v20, s0
	v_add_co_u32 v21, s0, 0x200, v21
	s_wait_alu 0xf1ff
	v_add_co_ci_u32_e64 v22, null, 0, v22, s0
	v_cmp_ge_i32_e64 s0, v33, v4
	v_add_co_u32 v23, s1, 0x200, v23
	s_wait_alu 0xf1ff
	v_add_co_ci_u32_e64 v32, null, 0, v32, s1
	s_or_b32 s34, s0, s34
	s_wait_loadcnt 0x0
	global_store_b128 v[38:39], v[34:37], off
	s_and_not1_b32 exec_lo, exec_lo, s34
	s_cbranch_execnz .LBB14_14
.LBB14_15:                              ;   in Loop: Header=BB14_9 Depth=1
	s_or_b32 exec_lo, exec_lo, s33
	v_lshl_add_u32 v21, v4, 2, v25
	s_mov_b32 s33, exec_lo
	s_delay_alu instid0(VALU_DEP_1)
	v_cmpx_lt_i32_e64 v21, v1
	s_cbranch_execz .LBB14_18
; %bb.16:                               ;   in Loop: Header=BB14_9 Depth=1
	v_ashrrev_i32_e32 v22, 31, v21
	s_mov_b32 s34, 0
	s_delay_alu instid0(VALU_DEP_1) | instskip(NEXT) | instid1(VALU_DEP_1)
	v_lshlrev_b64_e32 v[22:23], 2, v[21:22]
	v_add_co_u32 v4, s0, v19, v22
	s_wait_alu 0xf1ff
	s_delay_alu instid0(VALU_DEP_2) | instskip(NEXT) | instid1(VALU_DEP_2)
	v_add_co_ci_u32_e64 v23, null, v20, v23, s0
	v_add_co_u32 v19, s0, v4, v13
	s_wait_alu 0xf1ff
	s_delay_alu instid0(VALU_DEP_2) | instskip(NEXT) | instid1(VALU_DEP_2)
	v_add_co_ci_u32_e64 v20, null, v23, v14, s0
	v_add_co_u32 v19, s0, s18, v19
	s_wait_alu 0xf1ff
	s_delay_alu instid0(VALU_DEP_2)
	v_add_co_ci_u32_e64 v20, null, s19, v20, s0
	v_add_co_u32 v22, s0, v5, v4
	s_wait_alu 0xf1ff
	v_add_co_ci_u32_e64 v23, null, v6, v23, s0
.LBB14_17:                              ;   Parent Loop BB14_9 Depth=1
                                        ; =>  This Inner Loop Header: Depth=2
	global_load_b32 v4, v[19:20], off
	v_add_nc_u32_e32 v21, 32, v21
	v_add_co_u32 v19, s0, 0x80, v19
	s_wait_alu 0xf1ff
	v_add_co_ci_u32_e64 v20, null, 0, v20, s0
	s_delay_alu instid0(VALU_DEP_3)
	v_cmp_ge_i32_e64 s0, v21, v1
	s_or_b32 s34, s0, s34
	s_wait_loadcnt 0x0
	global_store_b32 v[22:23], v4, off
	v_add_co_u32 v22, s1, 0x80, v22
	s_wait_alu 0xf1ff
	v_add_co_ci_u32_e64 v23, null, 0, v23, s1
	s_and_not1_b32 exec_lo, exec_lo, s34
	s_cbranch_execnz .LBB14_17
.LBB14_18:                              ;   in Loop: Header=BB14_9 Depth=1
	s_or_b32 exec_lo, exec_lo, s33
.LBB14_19:                              ;   in Loop: Header=BB14_9 Depth=1
	s_and_not1_saveexec_b32 s31, s31
	s_cbranch_execz .LBB14_24
; %bb.20:                               ;   in Loop: Header=BB14_9 Depth=1
	s_and_saveexec_b32 s33, vcc_lo
	s_cbranch_execz .LBB14_23
; %bb.21:                               ;   in Loop: Header=BB14_9 Depth=1
	v_add_co_u32 v1, s0, s18, v13
	s_wait_alu 0xf1ff
	v_add_co_ci_u32_e64 v4, null, s19, v14, s0
	v_dual_mov_b32 v20, v6 :: v_dual_mov_b32 v19, v5
	v_mov_b32_e32 v21, v25
	s_mov_b32 s34, 0
.LBB14_22:                              ;   Parent Loop BB14_9 Depth=1
                                        ; =>  This Inner Loop Header: Depth=2
	v_add_co_u32 v22, s0, v1, v26
	s_wait_alu 0xf1ff
	v_add_co_ci_u32_e64 v23, null, 0, v4, s0
	v_add_nc_u32_e32 v21, 32, v21
	v_add_co_u32 v1, s1, 0x200, v1
	global_load_b128 v[32:35], v[22:23], off
	v_add_co_u32 v22, s0, v19, v26
	s_wait_alu 0xf1ff
	v_add_co_ci_u32_e64 v23, null, 0, v20, s0
	v_add_co_u32 v19, s0, 0x200, v19
	s_wait_alu 0xf1ff
	v_add_co_ci_u32_e64 v20, null, 0, v20, s0
	v_cmp_le_i32_e64 s0, s28, v21
	v_add_co_ci_u32_e64 v4, null, 0, v4, s1
	s_or_b32 s34, s0, s34
	s_wait_loadcnt 0x0
	global_store_b128 v[22:23], v[32:35], off
	s_and_not1_b32 exec_lo, exec_lo, s34
	s_cbranch_execnz .LBB14_22
.LBB14_23:                              ;   in Loop: Header=BB14_9 Depth=1
	s_or_b32 exec_lo, exec_lo, s33
.LBB14_24:                              ;   in Loop: Header=BB14_9 Depth=1
	s_delay_alu instid0(SALU_CYCLE_1) | instskip(SKIP_3) | instid1(VALU_DEP_2)
	s_or_b32 exec_lo, exec_lo, s31
	v_add_co_u32 v4, s0, s2, v17
	s_wait_alu 0xf1ff
	v_add_co_ci_u32_e64 v18, null, s3, v18, s0
	v_and_b32_e32 v1, 15, v4
	s_delay_alu instid0(VALU_DEP_1)
	v_cmp_ne_u64_e64 s0, 0, v[1:2]
	s_or_b32 s0, s30, s0
	s_wait_alu 0xfffe
	s_and_saveexec_b32 s1, s0
	s_wait_alu 0xfffe
	s_xor_b32 s31, exec_lo, s1
	s_cbranch_execz .LBB14_34
; %bb.25:                               ;   in Loop: Header=BB14_9 Depth=1
	v_sub_nc_u32_e32 v1, 0, v4
	s_mov_b32 s1, exec_lo
	s_delay_alu instid0(VALU_DEP_1) | instskip(NEXT) | instid1(VALU_DEP_1)
	v_bfe_u32 v1, v1, 2, 2
	v_min_i32_e32 v17, s21, v1
	s_delay_alu instid0(VALU_DEP_1)
	v_cmpx_lt_i32_e64 v25, v17
	s_cbranch_execz .LBB14_27
; %bb.26:                               ;   in Loop: Header=BB14_9 Depth=1
	v_add_co_u32 v19, s0, v4, v31
	s_wait_alu 0xf1ff
	v_add_co_ci_u32_e64 v20, null, 0, v18, s0
	v_lshlrev_b64_e32 v[15:16], 2, v[15:16]
	global_load_b32 v1, v[19:20], off
	v_add_co_u32 v4, s0, s4, v15
	s_wait_alu 0xf1ff
	v_add_co_ci_u32_e64 v16, null, s5, v16, s0
	s_delay_alu instid0(VALU_DEP_2) | instskip(SKIP_1) | instid1(VALU_DEP_2)
	v_add_co_u32 v15, s0, v4, v31
	s_wait_alu 0xf1ff
	v_add_co_ci_u32_e64 v16, null, 0, v16, s0
	s_wait_loadcnt 0x0
	global_store_b32 v[15:16], v1, off
.LBB14_27:                              ;   in Loop: Header=BB14_9 Depth=1
	s_wait_alu 0xfffe
	s_or_b32 exec_lo, exec_lo, s1
	v_sub_nc_u32_e32 v1, s21, v17
	v_ashrrev_i32_e32 v18, 31, v17
	s_mov_b32 s33, exec_lo
	s_delay_alu instid0(VALU_DEP_2) | instskip(NEXT) | instid1(VALU_DEP_2)
	v_ashrrev_i32_e32 v4, 31, v1
	v_lshlrev_b64_e32 v[15:16], 2, v[17:18]
	s_delay_alu instid0(VALU_DEP_2) | instskip(NEXT) | instid1(VALU_DEP_1)
	v_lshrrev_b32_e32 v4, 30, v4
	v_add_nc_u32_e32 v4, v1, v4
	s_delay_alu instid0(VALU_DEP_1) | instskip(NEXT) | instid1(VALU_DEP_1)
	v_ashrrev_i32_e32 v4, 2, v4
	v_cmpx_lt_i32_e64 v25, v4
	s_cbranch_execz .LBB14_30
; %bb.28:                               ;   in Loop: Header=BB14_9 Depth=1
	v_add_co_u32 v19, s0, v29, v13
	s_wait_alu 0xf1ff
	v_add_co_ci_u32_e64 v20, null, v30, v14, s0
	v_dual_mov_b32 v18, v10 :: v_dual_mov_b32 v17, v9
	v_mov_b32_e32 v21, v25
	s_mov_b32 s34, 0
.LBB14_29:                              ;   Parent Loop BB14_9 Depth=1
                                        ; =>  This Inner Loop Header: Depth=2
	v_add_co_u32 v22, s0, v19, v15
	s_wait_alu 0xf1ff
	v_add_co_ci_u32_e64 v23, null, v20, v16, s0
	v_add_nc_u32_e32 v21, 32, v21
	v_add_co_u32 v19, s1, 0x200, v19
	global_load_b128 v[32:35], v[22:23], off
	v_add_co_u32 v22, s0, v17, v15
	s_wait_alu 0xf1ff
	v_add_co_ci_u32_e64 v23, null, v18, v16, s0
	v_add_co_u32 v17, s0, 0x200, v17
	s_wait_alu 0xf1ff
	v_add_co_ci_u32_e64 v18, null, 0, v18, s0
	v_cmp_ge_i32_e64 s0, v21, v4
	v_add_co_ci_u32_e64 v20, null, 0, v20, s1
	s_or_b32 s34, s0, s34
	s_wait_loadcnt 0x0
	global_store_b128 v[22:23], v[32:35], off
	s_and_not1_b32 exec_lo, exec_lo, s34
	s_cbranch_execnz .LBB14_29
.LBB14_30:                              ;   in Loop: Header=BB14_9 Depth=1
	s_or_b32 exec_lo, exec_lo, s33
	v_lshl_add_u32 v17, v4, 2, v25
	s_mov_b32 s33, exec_lo
	s_delay_alu instid0(VALU_DEP_1)
	v_cmpx_lt_i32_e64 v17, v1
	s_cbranch_execz .LBB14_33
; %bb.31:                               ;   in Loop: Header=BB14_9 Depth=1
	v_ashrrev_i32_e32 v18, 31, v17
	s_mov_b32 s34, 0
	s_delay_alu instid0(VALU_DEP_1) | instskip(NEXT) | instid1(VALU_DEP_1)
	v_lshlrev_b64_e32 v[18:19], 2, v[17:18]
	v_add_co_u32 v4, s0, v15, v18
	s_wait_alu 0xf1ff
	s_delay_alu instid0(VALU_DEP_2) | instskip(NEXT) | instid1(VALU_DEP_2)
	v_add_co_ci_u32_e64 v16, null, v16, v19, s0
	v_add_co_u32 v13, s0, v4, v13
	s_wait_alu 0xf1ff
	s_delay_alu instid0(VALU_DEP_2) | instskip(NEXT) | instid1(VALU_DEP_2)
	v_add_co_ci_u32_e64 v14, null, v16, v14, s0
	v_add_co_u32 v13, s0, s2, v13
	s_wait_alu 0xf1ff
	s_delay_alu instid0(VALU_DEP_2)
	v_add_co_ci_u32_e64 v14, null, s3, v14, s0
	v_add_co_u32 v15, s0, v11, v4
	s_wait_alu 0xf1ff
	v_add_co_ci_u32_e64 v16, null, v12, v16, s0
.LBB14_32:                              ;   Parent Loop BB14_9 Depth=1
                                        ; =>  This Inner Loop Header: Depth=2
	global_load_b32 v4, v[13:14], off
	v_add_nc_u32_e32 v17, 32, v17
	v_add_co_u32 v13, s0, 0x80, v13
	s_wait_alu 0xf1ff
	v_add_co_ci_u32_e64 v14, null, 0, v14, s0
	s_delay_alu instid0(VALU_DEP_3)
	v_cmp_ge_i32_e64 s0, v17, v1
	s_or_b32 s34, s0, s34
	s_wait_loadcnt 0x0
	global_store_b32 v[15:16], v4, off
	v_add_co_u32 v15, s1, 0x80, v15
	s_wait_alu 0xf1ff
	v_add_co_ci_u32_e64 v16, null, 0, v16, s1
	s_and_not1_b32 exec_lo, exec_lo, s34
	s_cbranch_execnz .LBB14_32
.LBB14_33:                              ;   in Loop: Header=BB14_9 Depth=1
	s_or_b32 exec_lo, exec_lo, s33
                                        ; implicit-def: $vgpr13_vgpr14
.LBB14_34:                              ;   in Loop: Header=BB14_9 Depth=1
	s_and_not1_saveexec_b32 s31, s31
	s_cbranch_execz .LBB14_8
; %bb.35:                               ;   in Loop: Header=BB14_9 Depth=1
	s_and_saveexec_b32 s33, vcc_lo
	s_cbranch_execz .LBB14_7
; %bb.36:                               ;   in Loop: Header=BB14_9 Depth=1
	v_add_co_u32 v1, s0, s2, v13
	s_wait_alu 0xf1ff
	v_add_co_ci_u32_e64 v4, null, s3, v14, s0
	v_dual_mov_b32 v14, v12 :: v_dual_mov_b32 v13, v11
	v_mov_b32_e32 v15, v25
	s_mov_b32 s34, 0
.LBB14_37:                              ;   Parent Loop BB14_9 Depth=1
                                        ; =>  This Inner Loop Header: Depth=2
	v_add_co_u32 v16, s0, v1, v26
	s_wait_alu 0xf1ff
	v_add_co_ci_u32_e64 v17, null, 0, v4, s0
	v_add_nc_u32_e32 v15, 32, v15
	v_add_co_u32 v20, s0, v13, v26
	global_load_b128 v[16:19], v[16:17], off
	s_wait_alu 0xf1ff
	v_add_co_ci_u32_e64 v21, null, 0, v14, s0
	v_add_co_u32 v13, s0, 0x200, v13
	s_wait_alu 0xf1ff
	v_add_co_ci_u32_e64 v14, null, 0, v14, s0
	v_cmp_le_i32_e64 s0, s28, v15
	v_add_co_u32 v1, s1, 0x200, v1
	s_wait_alu 0xf1ff
	v_add_co_ci_u32_e64 v4, null, 0, v4, s1
	s_or_b32 s34, s0, s34
	s_wait_loadcnt 0x0
	global_store_b128 v[20:21], v[16:19], off
	s_and_not1_b32 exec_lo, exec_lo, s34
	s_cbranch_execnz .LBB14_37
	s_branch .LBB14_7
.LBB14_38:
	s_or_b32 exec_lo, exec_lo, s27
	s_mov_b32 s0, 0
.LBB14_39:
	s_wait_alu 0xfffe
	s_and_not1_b32 vcc_lo, exec_lo, s0
	s_cbranch_vccnz .LBB14_71
; %bb.40:
	s_and_b32 s0, s18, 15
	s_mov_b32 s1, 0
	s_wait_alu 0xfffe
	s_cmp_lg_u64 s[0:1], 0
	s_mul_i32 s1, s21, s20
	s_cselect_b32 s0, -1, 0
	s_wait_alu 0xfffe
	s_and_b32 s16, s1, 3
	s_wait_alu 0xfffe
	s_cmp_eq_u32 s16, 0
	s_cselect_b32 s20, -1, 0
	s_cmp_lg_u32 s16, 0
	s_cselect_b32 s16, -1, 0
	s_wait_alu 0xfffe
	s_or_b32 s0, s0, s16
	s_wait_alu 0xfffe
	s_and_b32 vcc_lo, exec_lo, s0
	s_mov_b32 s0, -1
	s_cbranch_vccz .LBB14_51
; %bb.41:
	s_sub_co_i32 s0, 0, s18
	s_mov_b32 s17, exec_lo
	s_wait_alu 0xfffe
	s_bfe_u32 s0, s0, 0x20002
	s_wait_alu 0xfffe
	s_min_i32 s16, s0, s1
	s_wait_alu 0xfffe
	v_cmpx_gt_i32_e64 s16, v0
	s_cbranch_execz .LBB14_44
; %bb.42:
	v_dual_mov_b32 v2, 0 :: v_dual_lshlrev_b32 v1, 2, v0
	v_mov_b32_e32 v3, v0
	s_mov_b32 s21, 0
	s_lshl_b32 s22, s26, 2
.LBB14_43:                              ; =>This Inner Loop Header: Depth=1
	s_delay_alu instid0(VALU_DEP_2)
	v_add_co_u32 v4, vcc_lo, s18, v1
	s_wait_alu 0xfffd
	v_add_co_ci_u32_e64 v5, null, s19, v2, vcc_lo
	v_add_nc_u32_e32 v3, s26, v3
	global_load_b32 v6, v[4:5], off
	v_add_co_u32 v4, vcc_lo, s6, v1
	s_wait_alu 0xfffd
	v_add_co_ci_u32_e64 v5, null, s7, v2, vcc_lo
	v_cmp_le_i32_e32 vcc_lo, s16, v3
	s_wait_alu 0xfffe
	v_add_co_u32 v1, s0, v1, s22
	s_wait_alu 0xf1ff
	v_add_co_ci_u32_e64 v2, null, 0, v2, s0
	s_or_b32 s21, vcc_lo, s21
	s_wait_loadcnt 0x0
	global_store_b32 v[4:5], v6, off
	s_wait_alu 0xfffe
	s_and_not1_b32 exec_lo, exec_lo, s21
	s_cbranch_execnz .LBB14_43
.LBB14_44:
	s_or_b32 exec_lo, exec_lo, s17
	s_sub_co_i32 s21, s1, s16
	s_ashr_i32 s17, s16, 31
	s_wait_alu 0xfffe
	s_ashr_i32 s0, s21, 31
	s_mov_b32 s23, exec_lo
	s_wait_alu 0xfffe
	s_lshr_b32 s0, s0, 30
	s_wait_alu 0xfffe
	s_add_co_i32 s0, s21, s0
	s_wait_alu 0xfffe
	s_ashr_i32 s22, s0, 2
	s_wait_alu 0xfffe
	v_cmpx_gt_i32_e64 s22, v0
	s_cbranch_execz .LBB14_47
; %bb.45:
	v_lshlrev_b32_e32 v3, 4, v0
	s_add_nc_u64 s[24:25], s[12:13], s[14:15]
	v_mov_b32_e32 v5, v0
	s_wait_alu 0xfffe
	s_add_nc_u64 s[8:9], s[8:9], s[24:25]
	s_mov_b32 s24, 0
	s_wait_alu 0xfffe
	v_add_co_u32 v1, s0, s8, v3
	s_wait_alu 0xf1ff
	v_add_co_ci_u32_e64 v2, null, s9, 0, s0
	v_add_co_u32 v3, s0, s18, v3
	s_wait_alu 0xf1ff
	v_add_co_ci_u32_e64 v4, null, s19, 0, s0
	s_lshl_b64 s[8:9], s[16:17], 2
	s_lshl_b32 s25, s26, 4
.LBB14_46:                              ; =>This Inner Loop Header: Depth=1
	s_wait_alu 0xfffe
	v_add_co_u32 v6, vcc_lo, v3, s8
	s_wait_alu 0xfffd
	v_add_co_ci_u32_e64 v7, null, s9, v4, vcc_lo
	v_add_nc_u32_e32 v5, s26, v5
	v_add_co_u32 v10, vcc_lo, v1, s8
	global_load_b128 v[6:9], v[6:7], off
	s_wait_alu 0xfffd
	v_add_co_ci_u32_e64 v11, null, s9, v2, vcc_lo
	v_add_co_u32 v1, vcc_lo, v1, s25
	s_wait_alu 0xfffd
	v_add_co_ci_u32_e64 v2, null, 0, v2, vcc_lo
	v_cmp_le_i32_e32 vcc_lo, s22, v5
	v_add_co_u32 v3, s0, v3, s25
	s_wait_alu 0xf1ff
	v_add_co_ci_u32_e64 v4, null, 0, v4, s0
	s_or_b32 s24, vcc_lo, s24
	s_wait_loadcnt 0x0
	global_store_b128 v[10:11], v[6:9], off
	s_wait_alu 0xfffe
	s_and_not1_b32 exec_lo, exec_lo, s24
	s_cbranch_execnz .LBB14_46
.LBB14_47:
	s_or_b32 exec_lo, exec_lo, s23
	v_lshl_add_u32 v1, s22, 2, v0
	s_mov_b32 s8, exec_lo
	s_delay_alu instid0(VALU_DEP_1)
	v_cmpx_gt_i32_e64 s21, v1
	s_cbranch_execz .LBB14_50
; %bb.48:
	v_ashrrev_i32_e32 v2, 31, v1
	s_lshl_b64 s[16:17], s[16:17], 2
	s_lshl_b32 s9, s26, 2
	s_delay_alu instid0(VALU_DEP_1) | instskip(SKIP_1) | instid1(VALU_DEP_1)
	v_lshlrev_b64_e32 v[2:3], 2, v[1:2]
	s_wait_alu 0xfffe
	v_add_co_u32 v2, vcc_lo, s16, v2
	s_wait_alu 0xfffd
	s_delay_alu instid0(VALU_DEP_2)
	v_add_co_ci_u32_e64 v3, null, s17, v3, vcc_lo
	s_mov_b32 s16, 0
.LBB14_49:                              ; =>This Inner Loop Header: Depth=1
	v_add_co_u32 v4, vcc_lo, s18, v2
	s_wait_alu 0xfffd
	v_add_co_ci_u32_e64 v5, null, s19, v3, vcc_lo
	v_add_nc_u32_e32 v1, s26, v1
	global_load_b32 v6, v[4:5], off
	v_add_co_u32 v4, vcc_lo, s6, v2
	s_wait_alu 0xfffd
	v_add_co_ci_u32_e64 v5, null, s7, v3, vcc_lo
	v_cmp_le_i32_e32 vcc_lo, s21, v1
	v_add_co_u32 v2, s0, v2, s9
	s_wait_alu 0xf1ff
	v_add_co_ci_u32_e64 v3, null, 0, v3, s0
	s_wait_alu 0xfffe
	s_or_b32 s16, vcc_lo, s16
	s_wait_loadcnt 0x0
	global_store_b32 v[4:5], v6, off
	s_wait_alu 0xfffe
	s_and_not1_b32 exec_lo, exec_lo, s16
	s_cbranch_execnz .LBB14_49
.LBB14_50:
	s_wait_alu 0xfffe
	s_or_b32 exec_lo, exec_lo, s8
	s_mov_b32 s0, 0
.LBB14_51:
	s_wait_alu 0xfffe
	s_and_b32 vcc_lo, exec_lo, s0
	s_wait_alu 0xfffe
	s_cbranch_vccz .LBB14_56
; %bb.52:
	s_ashr_i32 s8, s1, 2
	s_mov_b32 s9, exec_lo
	s_wait_alu 0xfffe
	v_cmpx_gt_i32_e64 s8, v0
	s_cbranch_execz .LBB14_55
; %bb.53:
	v_dual_mov_b32 v2, 0 :: v_dual_lshlrev_b32 v1, 4, v0
	v_mov_b32_e32 v3, v0
	s_mov_b32 s16, 0
	s_lshl_b32 s17, s26, 4
.LBB14_54:                              ; =>This Inner Loop Header: Depth=1
	s_delay_alu instid0(VALU_DEP_2)
	v_add_co_u32 v4, vcc_lo, s18, v1
	s_wait_alu 0xfffd
	v_add_co_ci_u32_e64 v5, null, s19, v2, vcc_lo
	v_add_nc_u32_e32 v3, s26, v3
	v_add_co_u32 v8, vcc_lo, s6, v1
	global_load_b128 v[4:7], v[4:5], off
	s_wait_alu 0xfffd
	v_add_co_ci_u32_e64 v9, null, s7, v2, vcc_lo
	v_cmp_le_i32_e32 vcc_lo, s8, v3
	s_wait_alu 0xfffe
	v_add_co_u32 v1, s0, v1, s17
	s_wait_alu 0xf1ff
	v_add_co_ci_u32_e64 v2, null, 0, v2, s0
	s_or_b32 s16, vcc_lo, s16
	s_wait_loadcnt 0x0
	global_store_b128 v[8:9], v[4:7], off
	s_wait_alu 0xfffe
	s_and_not1_b32 exec_lo, exec_lo, s16
	s_cbranch_execnz .LBB14_54
.LBB14_55:
	s_or_b32 exec_lo, exec_lo, s9
.LBB14_56:
	s_and_b32 s6, s2, 15
	s_mov_b32 s7, 0
	s_wait_alu 0xfffe
	s_cmp_lg_u64 s[6:7], 0
	s_cselect_b32 s0, -1, 0
	s_xor_b32 s6, s20, -1
	s_wait_alu 0xfffe
	s_or_b32 s0, s6, s0
	s_wait_alu 0xfffe
	s_and_b32 vcc_lo, exec_lo, s0
	s_mov_b32 s0, -1
	s_wait_alu 0xfffe
	s_cbranch_vccz .LBB14_67
; %bb.57:
	s_sub_co_i32 s0, 0, s2
	s_mov_b32 s7, exec_lo
	s_wait_alu 0xfffe
	s_bfe_u32 s0, s0, 0x20002
	s_wait_alu 0xfffe
	s_min_i32 s6, s0, s1
	s_wait_alu 0xfffe
	v_cmpx_gt_i32_e64 s6, v0
	s_cbranch_execz .LBB14_60
; %bb.58:
	v_dual_mov_b32 v2, 0 :: v_dual_lshlrev_b32 v1, 2, v0
	v_mov_b32_e32 v3, v0
	s_mov_b32 s8, 0
	s_lshl_b32 s9, s26, 2
.LBB14_59:                              ; =>This Inner Loop Header: Depth=1
	s_delay_alu instid0(VALU_DEP_2)
	v_add_co_u32 v4, vcc_lo, s2, v1
	s_wait_alu 0xfffd
	v_add_co_ci_u32_e64 v5, null, s3, v2, vcc_lo
	v_add_nc_u32_e32 v3, s26, v3
	global_load_b32 v6, v[4:5], off
	v_add_co_u32 v4, vcc_lo, s4, v1
	s_wait_alu 0xfffd
	v_add_co_ci_u32_e64 v5, null, s5, v2, vcc_lo
	v_cmp_le_i32_e32 vcc_lo, s6, v3
	s_wait_alu 0xfffe
	v_add_co_u32 v1, s0, v1, s9
	s_wait_alu 0xf1ff
	v_add_co_ci_u32_e64 v2, null, 0, v2, s0
	s_or_b32 s8, vcc_lo, s8
	s_wait_loadcnt 0x0
	global_store_b32 v[4:5], v6, off
	s_wait_alu 0xfffe
	s_and_not1_b32 exec_lo, exec_lo, s8
	s_cbranch_execnz .LBB14_59
.LBB14_60:
	s_or_b32 exec_lo, exec_lo, s7
	s_sub_co_i32 s16, s1, s6
	s_ashr_i32 s7, s6, 31
	s_wait_alu 0xfffe
	s_ashr_i32 s0, s16, 31
	s_mov_b32 s18, exec_lo
	s_wait_alu 0xfffe
	s_lshr_b32 s0, s0, 30
	s_wait_alu 0xfffe
	s_add_co_i32 s0, s16, s0
	s_wait_alu 0xfffe
	s_ashr_i32 s17, s0, 2
	s_wait_alu 0xfffe
	v_cmpx_gt_i32_e64 s17, v0
	s_cbranch_execz .LBB14_63
; %bb.61:
	v_lshlrev_b32_e32 v3, 4, v0
	s_add_nc_u64 s[8:9], s[12:13], s[14:15]
	v_mov_b32_e32 v5, v0
	s_wait_alu 0xfffe
	s_add_nc_u64 s[8:9], s[10:11], s[8:9]
	s_mov_b32 s10, 0
	s_wait_alu 0xfffe
	v_add_co_u32 v1, s0, s8, v3
	s_wait_alu 0xf1ff
	v_add_co_ci_u32_e64 v2, null, s9, 0, s0
	v_add_co_u32 v3, s0, s2, v3
	s_wait_alu 0xf1ff
	v_add_co_ci_u32_e64 v4, null, s3, 0, s0
	s_lshl_b64 s[8:9], s[6:7], 2
	s_lshl_b32 s11, s26, 4
.LBB14_62:                              ; =>This Inner Loop Header: Depth=1
	s_wait_alu 0xfffe
	v_add_co_u32 v6, vcc_lo, v3, s8
	s_wait_alu 0xfffd
	v_add_co_ci_u32_e64 v7, null, s9, v4, vcc_lo
	v_add_nc_u32_e32 v5, s26, v5
	v_add_co_u32 v10, vcc_lo, v1, s8
	global_load_b128 v[6:9], v[6:7], off
	s_wait_alu 0xfffd
	v_add_co_ci_u32_e64 v11, null, s9, v2, vcc_lo
	v_add_co_u32 v1, vcc_lo, v1, s11
	s_wait_alu 0xfffd
	v_add_co_ci_u32_e64 v2, null, 0, v2, vcc_lo
	v_cmp_le_i32_e32 vcc_lo, s17, v5
	v_add_co_u32 v3, s0, v3, s11
	s_wait_alu 0xf1ff
	v_add_co_ci_u32_e64 v4, null, 0, v4, s0
	s_or_b32 s10, vcc_lo, s10
	s_wait_loadcnt 0x0
	global_store_b128 v[10:11], v[6:9], off
	s_wait_alu 0xfffe
	s_and_not1_b32 exec_lo, exec_lo, s10
	s_cbranch_execnz .LBB14_62
.LBB14_63:
	s_or_b32 exec_lo, exec_lo, s18
	v_lshl_add_u32 v1, s17, 2, v0
	s_mov_b32 s8, exec_lo
	s_delay_alu instid0(VALU_DEP_1)
	v_cmpx_gt_i32_e64 s16, v1
	s_cbranch_execz .LBB14_66
; %bb.64:
	v_ashrrev_i32_e32 v2, 31, v1
	s_lshl_b64 s[6:7], s[6:7], 2
	s_delay_alu instid0(VALU_DEP_1) | instskip(SKIP_1) | instid1(VALU_DEP_1)
	v_lshlrev_b64_e32 v[2:3], 2, v[1:2]
	s_wait_alu 0xfffe
	v_add_co_u32 v2, vcc_lo, s6, v2
	s_wait_alu 0xfffd
	s_delay_alu instid0(VALU_DEP_2)
	v_add_co_ci_u32_e64 v3, null, s7, v3, vcc_lo
	s_lshl_b32 s6, s26, 2
	s_mov_b32 s7, 0
.LBB14_65:                              ; =>This Inner Loop Header: Depth=1
	v_add_co_u32 v4, vcc_lo, s2, v2
	s_wait_alu 0xfffd
	v_add_co_ci_u32_e64 v5, null, s3, v3, vcc_lo
	v_add_nc_u32_e32 v1, s26, v1
	global_load_b32 v6, v[4:5], off
	v_add_co_u32 v4, vcc_lo, s4, v2
	s_wait_alu 0xfffd
	v_add_co_ci_u32_e64 v5, null, s5, v3, vcc_lo
	v_cmp_le_i32_e32 vcc_lo, s16, v1
	s_wait_alu 0xfffe
	v_add_co_u32 v2, s0, v2, s6
	s_wait_alu 0xf1ff
	v_add_co_ci_u32_e64 v3, null, 0, v3, s0
	s_or_b32 s7, vcc_lo, s7
	s_wait_loadcnt 0x0
	global_store_b32 v[4:5], v6, off
	s_wait_alu 0xfffe
	s_and_not1_b32 exec_lo, exec_lo, s7
	s_cbranch_execnz .LBB14_65
.LBB14_66:
	s_wait_alu 0xfffe
	s_or_b32 exec_lo, exec_lo, s8
	s_mov_b32 s0, 0
.LBB14_67:
	s_wait_alu 0xfffe
	s_and_b32 vcc_lo, exec_lo, s0
	s_wait_alu 0xfffe
	s_cbranch_vccz .LBB14_71
; %bb.68:
	s_ashr_i32 s1, s1, 2
	s_mov_b32 s0, exec_lo
	s_wait_alu 0xfffe
	v_cmpx_gt_i32_e64 s1, v0
	s_cbranch_execz .LBB14_71
; %bb.69:
	v_dual_mov_b32 v2, 0 :: v_dual_lshlrev_b32 v1, 4, v0
	s_mov_b32 s6, 0
	s_lshl_b32 s7, s26, 4
.LBB14_70:                              ; =>This Inner Loop Header: Depth=1
	s_delay_alu instid0(VALU_DEP_1)
	v_add_co_u32 v3, vcc_lo, s2, v1
	s_wait_alu 0xfffd
	v_add_co_ci_u32_e64 v4, null, s3, v2, vcc_lo
	v_add_nc_u32_e32 v0, s26, v0
	v_add_co_u32 v7, vcc_lo, s4, v1
	global_load_b128 v[3:6], v[3:4], off
	s_wait_alu 0xfffd
	v_add_co_ci_u32_e64 v8, null, s5, v2, vcc_lo
	v_cmp_le_i32_e32 vcc_lo, s1, v0
	s_wait_alu 0xfffe
	v_add_co_u32 v1, s0, v1, s7
	s_wait_alu 0xf1ff
	v_add_co_ci_u32_e64 v2, null, 0, v2, s0
	s_or_b32 s6, vcc_lo, s6
	s_wait_loadcnt 0x0
	global_store_b128 v[7:8], v[3:6], off
	s_wait_alu 0xfffe
	s_and_not1_b32 exec_lo, exec_lo, s6
	s_cbranch_execnz .LBB14_70
.LBB14_71:
	s_endpgm
.LBB14_72:
                                        ; implicit-def: $sgpr26_sgpr27
	s_load_b256 s[4:11], s[0:1], 0x0
	s_branch .LBB14_3
	.section	.rodata,"a",@progbits
	.p2align	6, 0x0
	.amdhsa_kernel _ZN4vllm30reshape_and_cache_flash_kernelIffLNS_18Fp8KVCacheDataTypeE0EEEvPKT_S4_PT0_S6_PKlllllliiiPKfSA_
		.amdhsa_group_segment_fixed_size 0
		.amdhsa_private_segment_fixed_size 0
		.amdhsa_kernarg_size 368
		.amdhsa_user_sgpr_count 2
		.amdhsa_user_sgpr_dispatch_ptr 0
		.amdhsa_user_sgpr_queue_ptr 0
		.amdhsa_user_sgpr_kernarg_segment_ptr 1
		.amdhsa_user_sgpr_dispatch_id 0
		.amdhsa_user_sgpr_private_segment_size 0
		.amdhsa_wavefront_size32 1
		.amdhsa_uses_dynamic_stack 0
		.amdhsa_enable_private_segment 0
		.amdhsa_system_sgpr_workgroup_id_x 1
		.amdhsa_system_sgpr_workgroup_id_y 0
		.amdhsa_system_sgpr_workgroup_id_z 0
		.amdhsa_system_sgpr_workgroup_info 0
		.amdhsa_system_vgpr_workitem_id 0
		.amdhsa_next_free_vgpr 40
		.amdhsa_next_free_sgpr 35
		.amdhsa_reserve_vcc 1
		.amdhsa_float_round_mode_32 0
		.amdhsa_float_round_mode_16_64 0
		.amdhsa_float_denorm_mode_32 3
		.amdhsa_float_denorm_mode_16_64 3
		.amdhsa_fp16_overflow 0
		.amdhsa_workgroup_processor_mode 1
		.amdhsa_memory_ordered 1
		.amdhsa_forward_progress 1
		.amdhsa_inst_pref_size 39
		.amdhsa_round_robin_scheduling 0
		.amdhsa_exception_fp_ieee_invalid_op 0
		.amdhsa_exception_fp_denorm_src 0
		.amdhsa_exception_fp_ieee_div_zero 0
		.amdhsa_exception_fp_ieee_overflow 0
		.amdhsa_exception_fp_ieee_underflow 0
		.amdhsa_exception_fp_ieee_inexact 0
		.amdhsa_exception_int_div_zero 0
	.end_amdhsa_kernel
	.section	.text._ZN4vllm30reshape_and_cache_flash_kernelIffLNS_18Fp8KVCacheDataTypeE0EEEvPKT_S4_PT0_S6_PKlllllliiiPKfSA_,"axG",@progbits,_ZN4vllm30reshape_and_cache_flash_kernelIffLNS_18Fp8KVCacheDataTypeE0EEEvPKT_S4_PT0_S6_PKlllllliiiPKfSA_,comdat
.Lfunc_end14:
	.size	_ZN4vllm30reshape_and_cache_flash_kernelIffLNS_18Fp8KVCacheDataTypeE0EEEvPKT_S4_PT0_S6_PKlllllliiiPKfSA_, .Lfunc_end14-_ZN4vllm30reshape_and_cache_flash_kernelIffLNS_18Fp8KVCacheDataTypeE0EEEvPKT_S4_PT0_S6_PKlllllliiiPKfSA_
                                        ; -- End function
	.set _ZN4vllm30reshape_and_cache_flash_kernelIffLNS_18Fp8KVCacheDataTypeE0EEEvPKT_S4_PT0_S6_PKlllllliiiPKfSA_.num_vgpr, 40
	.set _ZN4vllm30reshape_and_cache_flash_kernelIffLNS_18Fp8KVCacheDataTypeE0EEEvPKT_S4_PT0_S6_PKlllllliiiPKfSA_.num_agpr, 0
	.set _ZN4vllm30reshape_and_cache_flash_kernelIffLNS_18Fp8KVCacheDataTypeE0EEEvPKT_S4_PT0_S6_PKlllllliiiPKfSA_.numbered_sgpr, 35
	.set _ZN4vllm30reshape_and_cache_flash_kernelIffLNS_18Fp8KVCacheDataTypeE0EEEvPKT_S4_PT0_S6_PKlllllliiiPKfSA_.num_named_barrier, 0
	.set _ZN4vllm30reshape_and_cache_flash_kernelIffLNS_18Fp8KVCacheDataTypeE0EEEvPKT_S4_PT0_S6_PKlllllliiiPKfSA_.private_seg_size, 0
	.set _ZN4vllm30reshape_and_cache_flash_kernelIffLNS_18Fp8KVCacheDataTypeE0EEEvPKT_S4_PT0_S6_PKlllllliiiPKfSA_.uses_vcc, 1
	.set _ZN4vllm30reshape_and_cache_flash_kernelIffLNS_18Fp8KVCacheDataTypeE0EEEvPKT_S4_PT0_S6_PKlllllliiiPKfSA_.uses_flat_scratch, 0
	.set _ZN4vllm30reshape_and_cache_flash_kernelIffLNS_18Fp8KVCacheDataTypeE0EEEvPKT_S4_PT0_S6_PKlllllliiiPKfSA_.has_dyn_sized_stack, 0
	.set _ZN4vllm30reshape_and_cache_flash_kernelIffLNS_18Fp8KVCacheDataTypeE0EEEvPKT_S4_PT0_S6_PKlllllliiiPKfSA_.has_recursion, 0
	.set _ZN4vllm30reshape_and_cache_flash_kernelIffLNS_18Fp8KVCacheDataTypeE0EEEvPKT_S4_PT0_S6_PKlllllliiiPKfSA_.has_indirect_call, 0
	.section	.AMDGPU.csdata,"",@progbits
; Kernel info:
; codeLenInByte = 4992
; TotalNumSgprs: 37
; NumVgprs: 40
; ScratchSize: 0
; MemoryBound: 0
; FloatMode: 240
; IeeeMode: 1
; LDSByteSize: 0 bytes/workgroup (compile time only)
; SGPRBlocks: 0
; VGPRBlocks: 4
; NumSGPRsForWavesPerEU: 37
; NumVGPRsForWavesPerEU: 40
; Occupancy: 16
; WaveLimiterHint : 1
; COMPUTE_PGM_RSRC2:SCRATCH_EN: 0
; COMPUTE_PGM_RSRC2:USER_SGPR: 2
; COMPUTE_PGM_RSRC2:TRAP_HANDLER: 0
; COMPUTE_PGM_RSRC2:TGID_X_EN: 1
; COMPUTE_PGM_RSRC2:TGID_Y_EN: 0
; COMPUTE_PGM_RSRC2:TGID_Z_EN: 0
; COMPUTE_PGM_RSRC2:TIDIG_COMP_CNT: 0
	.section	.text._ZN4vllm30reshape_and_cache_flash_kernelIttLNS_18Fp8KVCacheDataTypeE0EEEvPKT_S4_PT0_S6_PKlllllliiiPKfSA_,"axG",@progbits,_ZN4vllm30reshape_and_cache_flash_kernelIttLNS_18Fp8KVCacheDataTypeE0EEEvPKT_S4_PT0_S6_PKlllllliiiPKfSA_,comdat
	.protected	_ZN4vllm30reshape_and_cache_flash_kernelIttLNS_18Fp8KVCacheDataTypeE0EEEvPKT_S4_PT0_S6_PKlllllliiiPKfSA_ ; -- Begin function _ZN4vllm30reshape_and_cache_flash_kernelIttLNS_18Fp8KVCacheDataTypeE0EEEvPKT_S4_PT0_S6_PKlllllliiiPKfSA_
	.globl	_ZN4vllm30reshape_and_cache_flash_kernelIttLNS_18Fp8KVCacheDataTypeE0EEEvPKT_S4_PT0_S6_PKlllllliiiPKfSA_
	.p2align	8
	.type	_ZN4vllm30reshape_and_cache_flash_kernelIttLNS_18Fp8KVCacheDataTypeE0EEEvPKT_S4_PT0_S6_PKlllllliiiPKfSA_,@function
_ZN4vllm30reshape_and_cache_flash_kernelIttLNS_18Fp8KVCacheDataTypeE0EEEvPKT_S4_PT0_S6_PKlllllliiiPKfSA_: ; @_ZN4vllm30reshape_and_cache_flash_kernelIttLNS_18Fp8KVCacheDataTypeE0EEEvPKT_S4_PT0_S6_PKlllllliiiPKfSA_
; %bb.0:
	s_load_b64 s[4:5], s[0:1], 0x20
	s_mov_b32 s2, ttmp9
	s_mov_b32 s3, 0
	s_delay_alu instid0(SALU_CYCLE_1)
	s_lshl_b64 s[6:7], s[2:3], 3
	s_wait_kmcnt 0x0
	s_add_nc_u64 s[4:5], s[4:5], s[6:7]
	s_load_b64 s[24:25], s[4:5], 0x0
	s_wait_kmcnt 0x0
	v_cmp_lt_i64_e64 s4, s[24:25], 0
	s_and_b32 vcc_lo, exec_lo, s4
	s_cbranch_vccnz .LBB15_139
; %bb.1:
	s_load_b96 s[20:22], s[0:1], 0x50
	s_wait_kmcnt 0x0
	s_ashr_i32 s23, s22, 31
	s_delay_alu instid0(SALU_CYCLE_1) | instskip(SKIP_1) | instid1(SALU_CYCLE_1)
	s_or_b64 s[4:5], s[24:25], s[22:23]
	s_mov_b32 s4, s3
	s_cmp_lg_u64 s[4:5], 0
	s_cbranch_scc0 .LBB15_140
; %bb.2:
	s_ashr_i32 s4, s23, 31
	s_mov_b32 s13, 0
	s_mov_b32 s5, s4
	s_delay_alu instid0(SALU_CYCLE_1) | instskip(NEXT) | instid1(SALU_CYCLE_1)
	s_add_nc_u64 s[6:7], s[22:23], s[4:5]
	s_xor_b64 s[6:7], s[6:7], s[4:5]
	s_delay_alu instid0(SALU_CYCLE_1) | instskip(SKIP_2) | instid1(SALU_CYCLE_2)
	s_cvt_f32_u32 s8, s6
	s_cvt_f32_u32 s9, s7
	s_sub_nc_u64 s[10:11], 0, s[6:7]
	s_fmamk_f32 s8, s9, 0x4f800000, s8
	s_delay_alu instid0(SALU_CYCLE_3) | instskip(NEXT) | instid1(TRANS32_DEP_1)
	v_s_rcp_f32 s8, s8
	s_mul_f32 s8, s8, 0x5f7ffffc
	s_wait_alu 0xfffe
	s_delay_alu instid0(SALU_CYCLE_2) | instskip(SKIP_1) | instid1(SALU_CYCLE_2)
	s_mul_f32 s9, s8, 0x2f800000
	s_wait_alu 0xfffe
	s_trunc_f32 s9, s9
	s_wait_alu 0xfffe
	s_delay_alu instid0(SALU_CYCLE_2) | instskip(SKIP_2) | instid1(SALU_CYCLE_1)
	s_fmamk_f32 s8, s9, 0xcf800000, s8
	s_cvt_u32_f32 s9, s9
	s_wait_alu 0xfffe
	s_cvt_u32_f32 s8, s8
	s_wait_alu 0xfffe
	s_delay_alu instid0(SALU_CYCLE_2) | instskip(NEXT) | instid1(SALU_CYCLE_1)
	s_mul_u64 s[14:15], s[10:11], s[8:9]
	s_mul_hi_u32 s17, s8, s15
	s_mul_i32 s16, s8, s15
	s_mul_hi_u32 s12, s8, s14
	s_mul_i32 s19, s9, s14
	s_add_nc_u64 s[16:17], s[12:13], s[16:17]
	s_mul_hi_u32 s18, s9, s14
	s_mul_hi_u32 s26, s9, s15
	s_add_co_u32 s12, s16, s19
	s_add_co_ci_u32 s12, s17, s18
	s_mul_i32 s14, s9, s15
	s_add_co_ci_u32 s15, s26, 0
	s_delay_alu instid0(SALU_CYCLE_1) | instskip(NEXT) | instid1(SALU_CYCLE_1)
	s_add_nc_u64 s[14:15], s[12:13], s[14:15]
	s_add_co_u32 s8, s8, s14
	s_cselect_b32 s12, -1, 0
	s_delay_alu instid0(SALU_CYCLE_1) | instskip(SKIP_3) | instid1(SALU_CYCLE_1)
	s_cmp_lg_u32 s12, 0
	s_add_co_ci_u32 s9, s9, s15
	s_wait_alu 0xfffe
	s_mul_u64 s[10:11], s[10:11], s[8:9]
	s_mul_hi_u32 s15, s8, s11
	s_mul_i32 s14, s8, s11
	s_mul_hi_u32 s12, s8, s10
	s_mul_i32 s17, s9, s10
	s_add_nc_u64 s[14:15], s[12:13], s[14:15]
	s_mul_hi_u32 s16, s9, s10
	s_mul_hi_u32 s18, s9, s11
	s_mul_i32 s10, s9, s11
	s_add_co_u32 s11, s14, s17
	s_add_co_ci_u32 s12, s15, s16
	s_add_co_ci_u32 s11, s18, 0
	s_delay_alu instid0(SALU_CYCLE_1) | instskip(NEXT) | instid1(SALU_CYCLE_1)
	s_add_nc_u64 s[10:11], s[12:13], s[10:11]
	s_add_co_u32 s16, s8, s10
	s_cselect_b32 s8, -1, 0
	s_wait_alu 0xfffe
	s_cmp_lg_u32 s8, 0
	s_add_co_ci_u32 s17, s9, s11
	s_ashr_i32 s8, s25, 31
	s_wait_alu 0xfffe
	s_mov_b32 s9, s8
	s_wait_alu 0xfffe
	s_add_nc_u64 s[10:11], s[24:25], s[8:9]
	s_delay_alu instid0(SALU_CYCLE_1) | instskip(NEXT) | instid1(SALU_CYCLE_1)
	s_xor_b64 s[10:11], s[10:11], s[8:9]
	s_mul_hi_u32 s15, s10, s17
	s_mul_i32 s14, s10, s17
	s_mul_hi_u32 s12, s10, s16
	s_mul_i32 s26, s11, s16
	s_add_nc_u64 s[14:15], s[12:13], s[14:15]
	s_mul_hi_u32 s19, s11, s16
	s_mul_hi_u32 s18, s11, s17
	s_add_co_u32 s12, s14, s26
	s_add_co_ci_u32 s12, s15, s19
	s_mul_i32 s16, s11, s17
	s_add_co_ci_u32 s17, s18, 0
	s_delay_alu instid0(SALU_CYCLE_1) | instskip(NEXT) | instid1(SALU_CYCLE_1)
	s_add_nc_u64 s[14:15], s[12:13], s[16:17]
	s_mul_u64 s[16:17], s[6:7], s[14:15]
	s_delay_alu instid0(SALU_CYCLE_1)
	s_sub_co_u32 s10, s10, s16
	s_cselect_b32 s12, -1, 0
	s_sub_co_i32 s16, s11, s17
	s_cmp_lg_u32 s12, 0
	s_sub_co_ci_u32 s16, s16, s7
	s_sub_co_u32 s18, s10, s6
	s_cselect_b32 s19, -1, 0
	s_delay_alu instid0(SALU_CYCLE_1) | instskip(SKIP_1) | instid1(SALU_CYCLE_1)
	s_cmp_lg_u32 s19, 0
	s_sub_co_ci_u32 s16, s16, 0
	s_cmp_ge_u32 s16, s7
	s_cselect_b32 s26, -1, 0
	s_cmp_ge_u32 s18, s6
	s_add_nc_u64 s[18:19], s[14:15], 1
	s_cselect_b32 s27, -1, 0
	s_cmp_eq_u32 s16, s7
	s_cselect_b32 s16, s27, s26
	s_add_nc_u64 s[26:27], s[14:15], 2
	s_cmp_lg_u32 s16, 0
	s_cselect_b32 s16, s26, s18
	s_cselect_b32 s18, s27, s19
	s_cmp_lg_u32 s12, 0
	s_sub_co_ci_u32 s11, s11, s17
	s_delay_alu instid0(SALU_CYCLE_1)
	s_cmp_ge_u32 s11, s7
	s_cselect_b32 s12, -1, 0
	s_cmp_ge_u32 s10, s6
	s_cselect_b32 s6, -1, 0
	s_cmp_eq_u32 s11, s7
	s_cselect_b32 s6, s6, s12
	s_delay_alu instid0(SALU_CYCLE_1) | instskip(SKIP_3) | instid1(SALU_CYCLE_1)
	s_cmp_lg_u32 s6, 0
	s_cselect_b32 s7, s18, s15
	s_cselect_b32 s6, s16, s14
	s_xor_b64 s[4:5], s[8:9], s[4:5]
	s_xor_b64 s[6:7], s[6:7], s[4:5]
	s_delay_alu instid0(SALU_CYCLE_1)
	s_sub_nc_u64 s[26:27], s[6:7], s[4:5]
	s_load_b256 s[4:11], s[0:1], 0x0
	s_cbranch_execnz .LBB15_4
.LBB15_3:
	v_cvt_f32_u32_e32 v1, s22
	s_sub_co_i32 s13, 0, s22
	s_mov_b32 s27, 0
	s_delay_alu instid0(VALU_DEP_1) | instskip(NEXT) | instid1(TRANS32_DEP_1)
	v_rcp_iflag_f32_e32 v1, v1
	v_mul_f32_e32 v1, 0x4f7ffffe, v1
	s_delay_alu instid0(VALU_DEP_1) | instskip(NEXT) | instid1(VALU_DEP_1)
	v_cvt_u32_f32_e32 v1, v1
	v_readfirstlane_b32 s12, v1
	s_mul_i32 s13, s13, s12
	s_delay_alu instid0(SALU_CYCLE_1) | instskip(NEXT) | instid1(SALU_CYCLE_1)
	s_mul_hi_u32 s13, s12, s13
	s_add_co_i32 s12, s12, s13
	s_delay_alu instid0(SALU_CYCLE_1) | instskip(NEXT) | instid1(SALU_CYCLE_1)
	s_mul_hi_u32 s12, s24, s12
	s_mul_i32 s13, s12, s22
	s_add_co_i32 s14, s12, 1
	s_sub_co_i32 s13, s24, s13
	s_delay_alu instid0(SALU_CYCLE_1)
	s_sub_co_i32 s15, s13, s22
	s_cmp_ge_u32 s13, s22
	s_cselect_b32 s12, s14, s12
	s_cselect_b32 s13, s15, s13
	s_add_co_i32 s14, s12, 1
	s_cmp_ge_u32 s13, s22
	s_cselect_b32 s26, s14, s12
.LBB15_4:
	s_clause 0x2
	s_load_b256 s[12:19], s[0:1], 0x28
	s_load_b64 s[28:29], s[0:1], 0x48
	s_load_b32 s30, s[0:1], 0x7c
	s_mul_u64 s[0:1], s[26:27], s[22:23]
	s_ashr_i32 s23, s21, 31
	s_sub_nc_u64 s[0:1], s[24:25], s[0:1]
	s_mov_b32 s22, s21
	s_wait_kmcnt 0x0
	s_mul_u64 s[18:19], s[18:19], s[2:3]
	s_mul_u64 s[2:3], s[28:29], s[2:3]
	s_mul_u64 s[12:13], s[26:27], s[12:13]
	s_mul_u64 s[0:1], s[0:1], s[14:15]
	s_lshl_b64 s[18:19], s[18:19], 1
	s_lshl_b64 s[2:3], s[2:3], 1
	;; [unrolled: 1-line block ×4, first 2 shown]
	s_add_nc_u64 s[18:19], s[4:5], s[18:19]
	s_add_nc_u64 s[4:5], s[6:7], s[2:3]
	;; [unrolled: 1-line block ×4, first 2 shown]
	s_and_b32 s28, s30, 0xffff
	s_wait_alu 0xfffe
	s_cmp_lg_u64 s[16:17], s[22:23]
	s_add_nc_u64 s[22:23], s[0:1], s[14:15]
	s_add_nc_u64 s[6:7], s[2:3], s[14:15]
	s_mov_b32 s0, -1
	s_cbranch_scc0 .LBB15_77
; %bb.5:
	v_lshrrev_b32_e32 v28, 5, v0
	s_mov_b32 s29, exec_lo
	s_delay_alu instid0(VALU_DEP_1)
	v_cmpx_gt_i32_e64 s20, v28
	s_cbranch_execz .LBB15_76
; %bb.6:
	v_mad_co_u64_u32 v[6:7], null, s16, v28, 0
	v_and_b32_e32 v1, 31, v0
	s_and_b32 s0, s21, 7
	s_lshr_b32 s24, s28, 5
	s_cmp_eq_u32 s0, 0
	s_add_nc_u64 s[2:3], s[14:15], s[12:13]
	s_cselect_b32 s33, -1, 0
	s_delay_alu instid0(VALU_DEP_2)
	v_mov_b32_e32 v2, v7
	v_not_b32_e32 v29, v1
	s_ashr_i32 s30, s21, 3
	v_mul_lo_u32 v5, s21, v28
	s_mov_b32 s25, 0
	v_mad_co_u64_u32 v[2:3], null, s17, v28, v[2:3]
	v_dual_mov_b32 v4, 0 :: v_dual_add_nc_u32 v9, s30, v29
	v_or_b32_e32 v8, 32, v1
	v_lshlrev_b32_e32 v31, 1, v1
	s_wait_alu 0xfffe
	s_mul_u64 s[26:27], s[16:17], s[24:25]
	v_lshrrev_b32_e32 v3, 5, v9
	v_cmp_lt_u32_e64 s0, 31, v9
	s_lshl_b64 s[26:27], s[26:27], 1
	s_mul_i32 s31, s21, s24
	s_xor_b32 s33, s33, -1
	v_add_nc_u32_e32 v3, 1, v3
	v_dual_mov_b32 v7, v2 :: v_dual_mov_b32 v2, v4
	v_cmp_gt_i32_e32 vcc_lo, s30, v1
	s_delay_alu instid0(VALU_DEP_3) | instskip(NEXT) | instid1(VALU_DEP_3)
	v_and_b32_e32 v30, 0xffffffe, v3
	v_lshlrev_b64_e32 v[10:11], 1, v[6:7]
	v_mov_b32_e32 v7, v1
	s_delay_alu instid0(VALU_DEP_3) | instskip(NEXT) | instid1(VALU_DEP_3)
	v_lshl_or_b32 v9, v30, 5, v1
	v_add_co_u32 v6, s1, s2, v10
	s_delay_alu instid0(VALU_DEP_1) | instskip(SKIP_1) | instid1(VALU_DEP_3)
	v_add_co_ci_u32_e64 v10, null, s3, v11, s1
	v_cmp_ne_u32_e64 s1, v3, v30
	v_add_co_u32 v11, s2, s8, v6
	s_wait_alu 0xf1ff
	s_delay_alu instid0(VALU_DEP_3)
	v_add_co_ci_u32_e64 v12, null, s9, v10, s2
	v_add_co_u32 v13, s2, s10, v6
	s_wait_alu 0xf1ff
	v_add_co_ci_u32_e64 v14, null, s11, v10, s2
	s_branch .LBB15_9
.LBB15_7:                               ;   in Loop: Header=BB15_9 Depth=1
	s_or_b32 exec_lo, exec_lo, s35
.LBB15_8:                               ;   in Loop: Header=BB15_9 Depth=1
	s_delay_alu instid0(SALU_CYCLE_1) | instskip(SKIP_4) | instid1(VALU_DEP_3)
	s_or_b32 exec_lo, exec_lo, s34
	v_add_nc_u32_e32 v28, s24, v28
	v_add_co_u32 v11, s2, v11, s26
	s_wait_alu 0xf1ff
	v_add_co_ci_u32_e64 v12, null, s27, v12, s2
	v_cmp_le_i32_e64 s2, s20, v28
	v_add_co_u32 v13, s3, v13, s26
	v_add_nc_u32_e32 v5, s31, v5
	s_wait_alu 0xf1ff
	v_add_co_ci_u32_e64 v14, null, s27, v14, s3
	s_or_b32 s25, s2, s25
	s_wait_alu 0xfffe
	s_and_not1_b32 exec_lo, exec_lo, s25
	s_cbranch_execz .LBB15_76
.LBB15_9:                               ; =>This Loop Header: Depth=1
                                        ;     Child Loop BB15_15 Depth 2
                                        ;     Child Loop BB15_21 Depth 2
	;; [unrolled: 1-line block ×12, first 2 shown]
	v_mul_lo_u32 v15, v28, s21
	v_mad_co_u64_u32 v[19:20], null, s16, v28, 0
	v_ashrrev_i32_e32 v6, 31, v5
	s_delay_alu instid0(VALU_DEP_3) | instskip(NEXT) | instid1(VALU_DEP_3)
	v_ashrrev_i32_e32 v16, 31, v15
	v_mov_b32_e32 v3, v20
	s_delay_alu instid0(VALU_DEP_2) | instskip(NEXT) | instid1(VALU_DEP_2)
	v_lshlrev_b64_e32 v[17:18], 1, v[15:16]
	v_mad_co_u64_u32 v[20:21], null, s17, v28, v[3:4]
	v_lshlrev_b64_e32 v[15:16], 1, v[5:6]
	s_delay_alu instid0(VALU_DEP_3) | instskip(SKIP_1) | instid1(VALU_DEP_4)
	v_add_co_u32 v10, s2, s18, v17
	s_wait_alu 0xf1ff
	v_add_co_ci_u32_e64 v25, null, s19, v18, s2
	s_delay_alu instid0(VALU_DEP_4) | instskip(NEXT) | instid1(VALU_DEP_3)
	v_lshlrev_b64_e32 v[19:20], 1, v[19:20]
	v_and_b32_e32 v3, 15, v10
	v_add_co_u32 v21, s2, s18, v15
	s_wait_alu 0xf1ff
	v_add_co_ci_u32_e64 v22, null, s19, v16, s2
	s_delay_alu instid0(VALU_DEP_3)
	v_cmp_ne_u64_e64 s2, 0, v[3:4]
	v_add_co_u32 v26, s3, s22, v19
	s_wait_alu 0xf1ff
	v_add_co_ci_u32_e64 v34, null, s23, v20, s3
	s_or_b32 s2, s33, s2
	s_wait_alu 0xfffe
	s_and_saveexec_b32 s3, s2
	s_wait_alu 0xfffe
	s_xor_b32 s34, exec_lo, s3
	s_cbranch_execz .LBB15_31
; %bb.10:                               ;   in Loop: Header=BB15_9 Depth=1
	v_sub_nc_u32_e32 v3, 0, v10
	s_mov_b32 s3, exec_lo
	s_delay_alu instid0(VALU_DEP_1) | instskip(NEXT) | instid1(VALU_DEP_1)
	v_bfe_u32 v3, v3, 1, 3
	v_min_i32_e32 v23, s21, v3
	s_delay_alu instid0(VALU_DEP_1)
	v_cmpx_lt_i32_e64 v1, v23
	s_cbranch_execz .LBB15_12
; %bb.11:                               ;   in Loop: Header=BB15_9 Depth=1
	v_add_co_u32 v32, s2, v10, v31
	s_wait_alu 0xf1ff
	v_add_co_ci_u32_e64 v33, null, 0, v25, s2
	global_load_u16 v3, v[32:33], off
	v_add_co_u32 v32, s2, v26, v31
	s_wait_alu 0xf1ff
	v_add_co_ci_u32_e64 v33, null, 0, v34, s2
	s_wait_loadcnt 0x0
	global_store_b16 v[32:33], v3, off
.LBB15_12:                              ;   in Loop: Header=BB15_9 Depth=1
	s_wait_alu 0xfffe
	s_or_b32 exec_lo, exec_lo, s3
	v_sub_nc_u32_e32 v6, s21, v23
	v_ashrrev_i32_e32 v24, 31, v23
	s_mov_b32 s35, exec_lo
	s_delay_alu instid0(VALU_DEP_2) | instskip(NEXT) | instid1(VALU_DEP_2)
	v_ashrrev_i32_e32 v3, 31, v6
	v_lshlrev_b64_e32 v[23:24], 1, v[23:24]
	s_delay_alu instid0(VALU_DEP_2) | instskip(NEXT) | instid1(VALU_DEP_2)
	v_lshrrev_b32_e32 v3, 29, v3
	v_add_co_u32 v10, s2, v10, v23
	s_wait_alu 0xf1ff
	s_delay_alu instid0(VALU_DEP_3) | instskip(NEXT) | instid1(VALU_DEP_3)
	v_add_co_ci_u32_e64 v32, null, v25, v24, s2
	v_add_nc_u32_e32 v3, v6, v3
	v_add_co_u32 v33, s2, v26, v23
	s_wait_alu 0xf1ff
	v_add_co_ci_u32_e64 v34, null, v34, v24, s2
	s_delay_alu instid0(VALU_DEP_3) | instskip(NEXT) | instid1(VALU_DEP_1)
	v_ashrrev_i32_e32 v27, 3, v3
	v_cmpx_lt_i32_e64 v1, v27
	s_cbranch_execz .LBB15_22
; %bb.13:                               ;   in Loop: Header=BB15_9 Depth=1
	v_dual_mov_b32 v26, v2 :: v_dual_add_nc_u32 v35, v27, v29
	v_mov_b32_e32 v3, v1
	v_mov_b32_e32 v25, v1
	s_mov_b32 s3, -1
	s_mov_b32 s36, exec_lo
	v_cmpx_lt_u32_e32 31, v35
	s_cbranch_execz .LBB15_19
; %bb.14:                               ;   in Loop: Header=BB15_9 Depth=1
	v_lshrrev_b32_e32 v3, 5, v35
	s_mov_b32 s37, 0
	v_dual_mov_b32 v26, v8 :: v_dual_mov_b32 v25, v7
	s_delay_alu instid0(VALU_DEP_2) | instskip(NEXT) | instid1(VALU_DEP_1)
	v_add_nc_u32_e32 v36, 1, v3
	v_and_b32_e32 v35, 0xffffffe, v36
	s_delay_alu instid0(VALU_DEP_1)
	v_mov_b32_e32 v37, v35
.LBB15_15:                              ;   Parent Loop BB15_9 Depth=1
                                        ; =>  This Inner Loop Header: Depth=2
	s_delay_alu instid0(VALU_DEP_4) | instskip(NEXT) | instid1(VALU_DEP_2)
	v_mov_b32_e32 v3, v25
	v_add_nc_u32_e32 v37, -2, v37
	v_add_nc_u32_e32 v25, 64, v25
	s_delay_alu instid0(VALU_DEP_3) | instskip(SKIP_1) | instid1(VALU_DEP_1)
	v_lshlrev_b64_e32 v[46:47], 4, v[3:4]
	v_dual_mov_b32 v3, v26 :: v_dual_add_nc_u32 v26, 64, v26
	v_lshlrev_b64_e32 v[48:49], 4, v[3:4]
	s_delay_alu instid0(VALU_DEP_3) | instskip(SKIP_1) | instid1(VALU_DEP_4)
	v_add_co_u32 v38, s2, v10, v46
	s_wait_alu 0xf1ff
	v_add_co_ci_u32_e64 v39, null, v32, v47, s2
	v_add_co_u32 v46, s3, v33, v46
	s_delay_alu instid0(VALU_DEP_4)
	v_add_co_u32 v42, s2, v10, v48
	s_wait_alu 0xf1ff
	v_add_co_ci_u32_e64 v43, null, v32, v49, s2
	s_clause 0x1
	global_load_b128 v[38:41], v[38:39], off
	global_load_b128 v[42:45], v[42:43], off
	v_cmp_eq_u32_e64 s2, 0, v37
	s_wait_alu 0xfffe
	v_add_co_ci_u32_e64 v47, null, v34, v47, s3
	v_add_co_u32 v48, s3, v33, v48
	s_wait_alu 0xf1ff
	v_add_co_ci_u32_e64 v49, null, v34, v49, s3
	s_or_b32 s37, s2, s37
	s_wait_loadcnt 0x1
	global_store_b128 v[46:47], v[38:41], off
	s_wait_loadcnt 0x0
	global_store_b128 v[48:49], v[42:45], off
	s_and_not1_b32 exec_lo, exec_lo, s37
	s_cbranch_execnz .LBB15_15
; %bb.16:                               ;   in Loop: Header=BB15_9 Depth=1
	s_or_b32 exec_lo, exec_lo, s37
	s_mov_b32 s3, 0
	s_mov_b32 s37, exec_lo
                                        ; implicit-def: $vgpr25_vgpr26
	v_cmpx_ne_u32_e64 v36, v35
; %bb.17:                               ;   in Loop: Header=BB15_9 Depth=1
	v_lshl_or_b32 v3, v35, 5, v1
	v_mov_b32_e32 v26, v4
	s_mov_b32 s3, exec_lo
	s_delay_alu instid0(VALU_DEP_2)
	v_mov_b32_e32 v25, v3
; %bb.18:                               ;   in Loop: Header=BB15_9 Depth=1
	s_or_b32 exec_lo, exec_lo, s37
	s_wait_alu 0xfffe
	s_or_not1_b32 s3, s3, exec_lo
.LBB15_19:                              ;   in Loop: Header=BB15_9 Depth=1
	s_or_b32 exec_lo, exec_lo, s36
	s_wait_alu 0xfffe
	s_and_b32 exec_lo, exec_lo, s3
	s_cbranch_execz .LBB15_22
; %bb.20:                               ;   in Loop: Header=BB15_9 Depth=1
	v_lshlrev_b64_e32 v[25:26], 4, v[25:26]
	s_mov_b32 s36, 0
	s_delay_alu instid0(VALU_DEP_1) | instskip(SKIP_1) | instid1(VALU_DEP_2)
	v_add_co_u32 v35, s2, v25, v15
	s_wait_alu 0xf1ff
	v_add_co_ci_u32_e64 v36, null, v26, v16, s2
	v_add_co_u32 v25, s2, v11, v25
	s_wait_alu 0xf1ff
	v_add_co_ci_u32_e64 v26, null, v12, v26, s2
	;; [unrolled: 3-line block ×3, first 2 shown]
.LBB15_21:                              ;   Parent Loop BB15_9 Depth=1
                                        ; =>  This Inner Loop Header: Depth=2
	s_delay_alu instid0(VALU_DEP_2) | instskip(SKIP_1) | instid1(VALU_DEP_2)
	v_add_co_u32 v37, s2, v35, v23
	s_wait_alu 0xf1ff
	v_add_co_ci_u32_e64 v38, null, v36, v24, s2
	v_add_nc_u32_e32 v3, 32, v3
	v_add_co_u32 v41, s2, v25, v23
	global_load_b128 v[37:40], v[37:38], off
	s_wait_alu 0xf1ff
	v_add_co_ci_u32_e64 v42, null, v26, v24, s2
	v_add_co_u32 v25, s2, 0x200, v25
	s_wait_alu 0xf1ff
	v_add_co_ci_u32_e64 v26, null, 0, v26, s2
	v_cmp_ge_i32_e64 s2, v3, v27
	v_add_co_u32 v35, s3, 0x200, v35
	s_wait_alu 0xf1ff
	v_add_co_ci_u32_e64 v36, null, 0, v36, s3
	s_or_b32 s36, s2, s36
	s_wait_loadcnt 0x0
	global_store_b128 v[41:42], v[37:40], off
	s_and_not1_b32 exec_lo, exec_lo, s36
	s_cbranch_execnz .LBB15_21
.LBB15_22:                              ;   in Loop: Header=BB15_9 Depth=1
	s_or_b32 exec_lo, exec_lo, s35
	v_lshlrev_b32_e32 v3, 3, v27
	s_mov_b32 s35, exec_lo
	s_delay_alu instid0(VALU_DEP_1) | instskip(NEXT) | instid1(VALU_DEP_1)
	v_add_nc_u32_e32 v25, v3, v1
	v_cmpx_lt_i32_e64 v25, v6
	s_cbranch_execz .LBB15_30
; %bb.23:                               ;   in Loop: Header=BB15_9 Depth=1
	v_add_nc_u32_e32 v26, v8, v3
	s_mov_b32 s3, -1
	s_mov_b32 s36, exec_lo
	s_delay_alu instid0(VALU_DEP_1) | instskip(NEXT) | instid1(VALU_DEP_1)
	v_max_i32_e32 v26, v26, v6
	v_add_nc_u32_e32 v26, v26, v29
	s_delay_alu instid0(VALU_DEP_1) | instskip(NEXT) | instid1(VALU_DEP_1)
	v_sub_nc_u32_e32 v3, v26, v3
	v_cmpx_lt_u32_e32 0x5f, v3
	s_cbranch_execz .LBB15_27
; %bb.24:                               ;   in Loop: Header=BB15_9 Depth=1
	v_lshrrev_b32_e32 v3, 5, v3
	v_add_nc_u32_e32 v26, 32, v25
	s_mov_b32 s37, 0
	s_delay_alu instid0(VALU_DEP_2) | instskip(NEXT) | instid1(VALU_DEP_2)
	v_add_nc_u32_e32 v3, 1, v3
	v_mov_b32_e32 v27, v26
	s_delay_alu instid0(VALU_DEP_2) | instskip(NEXT) | instid1(VALU_DEP_1)
	v_dual_mov_b32 v26, v25 :: v_dual_and_b32 v35, 0xffffffc, v3
	v_mov_b32_e32 v36, v35
.LBB15_25:                              ;   Parent Loop BB15_9 Depth=1
                                        ; =>  This Inner Loop Header: Depth=2
	s_delay_alu instid0(VALU_DEP_2) | instskip(SKIP_1) | instid1(VALU_DEP_3)
	v_add_nc_u32_e32 v37, 64, v26
	v_ashrrev_i32_e32 v42, 31, v26
	v_dual_mov_b32 v41, v26 :: v_dual_add_nc_u32 v36, -4, v36
	v_add_nc_u32_e32 v39, 64, v27
	v_ashrrev_i32_e32 v44, 31, v27
	v_dual_mov_b32 v43, v27 :: v_dual_add_nc_u32 v26, 0x80, v26
	v_ashrrev_i32_e32 v38, 31, v37
	v_lshlrev_b64_e32 v[41:42], 1, v[41:42]
	v_ashrrev_i32_e32 v40, 31, v39
	s_delay_alu instid0(VALU_DEP_4) | instskip(SKIP_2) | instid1(VALU_DEP_4)
	v_lshlrev_b64_e32 v[43:44], 1, v[43:44]
	v_add_nc_u32_e32 v27, 0x80, v27
	v_lshlrev_b64_e32 v[37:38], 1, v[37:38]
	v_lshlrev_b64_e32 v[39:40], 1, v[39:40]
	v_add_co_u32 v45, s2, v10, v41
	s_wait_alu 0xf1ff
	v_add_co_ci_u32_e64 v46, null, v32, v42, s2
	v_add_co_u32 v47, s2, v10, v43
	s_wait_alu 0xf1ff
	v_add_co_ci_u32_e64 v48, null, v32, v44, s2
	;; [unrolled: 3-line block ×4, first 2 shown]
	s_clause 0x3
	global_load_u16 v45, v[45:46], off
	global_load_u16 v46, v[47:48], off
	;; [unrolled: 1-line block ×4, first 2 shown]
	v_add_co_u32 v41, s3, v33, v41
	s_wait_alu 0xf1fe
	v_add_co_ci_u32_e64 v42, null, v34, v42, s3
	v_add_co_u32 v43, s3, v33, v43
	v_cmp_eq_u32_e64 s2, 0, v36
	s_wait_alu 0xf1ff
	v_add_co_ci_u32_e64 v44, null, v34, v44, s3
	v_add_co_u32 v37, s3, v33, v37
	s_wait_alu 0xf1ff
	v_add_co_ci_u32_e64 v38, null, v34, v38, s3
	v_add_co_u32 v39, s3, v33, v39
	s_wait_alu 0xf1ff
	v_add_co_ci_u32_e64 v40, null, v34, v40, s3
	s_or_b32 s37, s2, s37
	s_wait_loadcnt 0x3
	global_store_b16 v[41:42], v45, off
	s_wait_loadcnt 0x2
	global_store_b16 v[43:44], v46, off
	;; [unrolled: 2-line block ×4, first 2 shown]
	s_and_not1_b32 exec_lo, exec_lo, s37
	s_cbranch_execnz .LBB15_25
; %bb.26:                               ;   in Loop: Header=BB15_9 Depth=1
	s_or_b32 exec_lo, exec_lo, s37
	v_cmp_ne_u32_e64 s2, v3, v35
	v_lshl_add_u32 v25, v35, 5, v25
	s_or_not1_b32 s3, s2, exec_lo
.LBB15_27:                              ;   in Loop: Header=BB15_9 Depth=1
	s_or_b32 exec_lo, exec_lo, s36
	s_wait_alu 0xfffe
	s_and_b32 exec_lo, exec_lo, s3
	s_cbranch_execz .LBB15_30
; %bb.28:                               ;   in Loop: Header=BB15_9 Depth=1
	v_ashrrev_i32_e32 v26, 31, v25
	s_mov_b32 s36, 0
	s_delay_alu instid0(VALU_DEP_1) | instskip(NEXT) | instid1(VALU_DEP_1)
	v_lshlrev_b64_e32 v[26:27], 1, v[25:26]
	v_add_co_u32 v3, s2, v23, v26
	s_wait_alu 0xf1ff
	s_delay_alu instid0(VALU_DEP_2)
	v_add_co_ci_u32_e64 v10, null, v24, v27, s2
.LBB15_29:                              ;   Parent Loop BB15_9 Depth=1
                                        ; =>  This Inner Loop Header: Depth=2
	s_delay_alu instid0(VALU_DEP_2) | instskip(SKIP_1) | instid1(VALU_DEP_2)
	v_add_co_u32 v23, s2, v21, v3
	s_wait_alu 0xf1ff
	v_add_co_ci_u32_e64 v24, null, v22, v10, s2
	v_add_nc_u32_e32 v25, 32, v25
	global_load_u16 v26, v[23:24], off
	v_add_co_u32 v23, s2, v11, v3
	s_wait_alu 0xf1ff
	v_add_co_ci_u32_e64 v24, null, v12, v10, s2
	v_cmp_ge_i32_e64 s2, v25, v6
	v_add_co_u32 v3, s3, v3, 64
	s_wait_alu 0xf1ff
	v_add_co_ci_u32_e64 v10, null, 0, v10, s3
	s_or_b32 s36, s2, s36
	s_wait_loadcnt 0x0
	global_store_b16 v[23:24], v26, off
	s_and_not1_b32 exec_lo, exec_lo, s36
	s_cbranch_execnz .LBB15_29
.LBB15_30:                              ;   in Loop: Header=BB15_9 Depth=1
	s_or_b32 exec_lo, exec_lo, s35
                                        ; implicit-def: $vgpr21_vgpr22
                                        ; implicit-def: $vgpr10
                                        ; implicit-def: $vgpr25
                                        ; implicit-def: $vgpr26
                                        ; implicit-def: $vgpr34
.LBB15_31:                              ;   in Loop: Header=BB15_9 Depth=1
	s_and_not1_saveexec_b32 s34, s34
	s_cbranch_execz .LBB15_43
; %bb.32:                               ;   in Loop: Header=BB15_9 Depth=1
	s_and_saveexec_b32 s35, vcc_lo
	s_cbranch_execz .LBB15_42
; %bb.33:                               ;   in Loop: Header=BB15_9 Depth=1
	v_dual_mov_b32 v3, v1 :: v_dual_mov_b32 v24, v2
	v_mov_b32_e32 v23, v1
	s_mov_b32 s2, -1
	s_and_saveexec_b32 s36, s0
	s_cbranch_execz .LBB15_39
; %bb.34:                               ;   in Loop: Header=BB15_9 Depth=1
	v_mov_b32_e32 v24, v8
	v_dual_mov_b32 v6, v30 :: v_dual_mov_b32 v23, v7
	s_mov_b32 s37, 0
.LBB15_35:                              ;   Parent Loop BB15_9 Depth=1
                                        ; =>  This Inner Loop Header: Depth=2
	s_delay_alu instid0(VALU_DEP_1) | instskip(SKIP_1) | instid1(VALU_DEP_2)
	v_dual_mov_b32 v3, v23 :: v_dual_add_nc_u32 v6, -2, v6
	v_add_nc_u32_e32 v23, 64, v23
	v_lshlrev_b64_e32 v[32:33], 4, v[3:4]
	v_dual_mov_b32 v3, v24 :: v_dual_add_nc_u32 v24, 64, v24
	s_delay_alu instid0(VALU_DEP_1) | instskip(NEXT) | instid1(VALU_DEP_3)
	v_lshlrev_b64_e32 v[43:44], 4, v[3:4]
	v_add_co_u32 v35, s2, v10, v32
	s_wait_alu 0xf1fe
	s_delay_alu instid0(VALU_DEP_4) | instskip(SKIP_1) | instid1(VALU_DEP_4)
	v_add_co_ci_u32_e64 v36, null, v25, v33, s2
	v_add_co_u32 v32, s3, v26, v32
	v_add_co_u32 v39, s2, v10, v43
	s_wait_alu 0xf1ff
	v_add_co_ci_u32_e64 v40, null, v25, v44, s2
	s_clause 0x1
	global_load_b128 v[35:38], v[35:36], off
	global_load_b128 v[39:42], v[39:40], off
	v_cmp_eq_u32_e64 s2, 0, v6
	v_add_co_ci_u32_e64 v33, null, v34, v33, s3
	v_add_co_u32 v43, s3, v26, v43
	s_wait_alu 0xf1ff
	v_add_co_ci_u32_e64 v44, null, v34, v44, s3
	s_or_b32 s37, s2, s37
	s_wait_loadcnt 0x1
	global_store_b128 v[32:33], v[35:38], off
	s_wait_loadcnt 0x0
	global_store_b128 v[43:44], v[39:42], off
	s_and_not1_b32 exec_lo, exec_lo, s37
	s_cbranch_execnz .LBB15_35
; %bb.36:                               ;   in Loop: Header=BB15_9 Depth=1
	s_or_b32 exec_lo, exec_lo, s37
	s_mov_b32 s2, 0
                                        ; implicit-def: $vgpr23_vgpr24
	s_and_saveexec_b32 s3, s1
; %bb.37:                               ;   in Loop: Header=BB15_9 Depth=1
	v_mov_b32_e32 v10, v4
	s_mov_b32 s2, exec_lo
	s_delay_alu instid0(VALU_DEP_1)
	v_dual_mov_b32 v24, v10 :: v_dual_mov_b32 v23, v9
; %bb.38:                               ;   in Loop: Header=BB15_9 Depth=1
	s_wait_alu 0xfffe
	s_or_b32 exec_lo, exec_lo, s3
	v_mov_b32_e32 v3, v9
	s_or_not1_b32 s2, s2, exec_lo
.LBB15_39:                              ;   in Loop: Header=BB15_9 Depth=1
	s_or_b32 exec_lo, exec_lo, s36
	s_wait_alu 0xfffe
	s_and_b32 exec_lo, exec_lo, s2
	s_cbranch_execz .LBB15_42
; %bb.40:                               ;   in Loop: Header=BB15_9 Depth=1
	v_lshlrev_b64_e32 v[23:24], 4, v[23:24]
	v_dual_mov_b32 v26, v12 :: v_dual_mov_b32 v25, v11
	s_mov_b32 s36, 0
.LBB15_41:                              ;   Parent Loop BB15_9 Depth=1
                                        ; =>  This Inner Loop Header: Depth=2
	s_delay_alu instid0(VALU_DEP_2) | instskip(SKIP_1) | instid1(VALU_DEP_3)
	v_add_co_u32 v32, s2, v21, v23
	s_wait_alu 0xf1ff
	v_add_co_ci_u32_e64 v33, null, v22, v24, s2
	v_add_nc_u32_e32 v3, 32, v3
	v_add_co_u32 v36, s2, v25, v23
	global_load_b128 v[32:35], v[32:33], off
	s_wait_alu 0xf1ff
	v_add_co_ci_u32_e64 v37, null, v26, v24, s2
	v_add_co_u32 v25, s2, 0x200, v25
	s_wait_alu 0xf1ff
	v_add_co_ci_u32_e64 v26, null, 0, v26, s2
	v_cmp_le_i32_e64 s2, s30, v3
	v_add_co_u32 v21, s3, 0x200, v21
	s_wait_alu 0xf1ff
	v_add_co_ci_u32_e64 v22, null, 0, v22, s3
	s_or_b32 s36, s2, s36
	s_wait_loadcnt 0x0
	global_store_b128 v[36:37], v[32:35], off
	s_and_not1_b32 exec_lo, exec_lo, s36
	s_cbranch_execnz .LBB15_41
.LBB15_42:                              ;   in Loop: Header=BB15_9 Depth=1
	s_or_b32 exec_lo, exec_lo, s35
.LBB15_43:                              ;   in Loop: Header=BB15_9 Depth=1
	s_delay_alu instid0(SALU_CYCLE_1) | instskip(SKIP_4) | instid1(VALU_DEP_3)
	s_or_b32 exec_lo, exec_lo, s34
	v_add_co_u32 v10, s2, s4, v17
	s_wait_alu 0xf1ff
	v_add_co_ci_u32_e64 v21, null, s5, v18, s2
	v_add_co_u32 v17, s2, s4, v15
	v_and_b32_e32 v3, 15, v10
	s_wait_alu 0xf1ff
	v_add_co_ci_u32_e64 v18, null, s5, v16, s2
	v_add_co_u32 v22, s3, s6, v19
	s_delay_alu instid0(VALU_DEP_3)
	v_cmp_ne_u64_e64 s2, 0, v[3:4]
	s_wait_alu 0xf1ff
	v_add_co_ci_u32_e64 v25, null, s7, v20, s3
	s_or_b32 s2, s33, s2
	s_wait_alu 0xfffe
	s_and_saveexec_b32 s3, s2
	s_wait_alu 0xfffe
	s_xor_b32 s34, exec_lo, s3
	s_cbranch_execz .LBB15_65
; %bb.44:                               ;   in Loop: Header=BB15_9 Depth=1
	v_sub_nc_u32_e32 v3, 0, v10
	s_mov_b32 s3, exec_lo
	s_delay_alu instid0(VALU_DEP_1) | instskip(NEXT) | instid1(VALU_DEP_1)
	v_bfe_u32 v3, v3, 1, 3
	v_min_i32_e32 v19, s21, v3
	s_delay_alu instid0(VALU_DEP_1)
	v_cmpx_lt_i32_e64 v1, v19
	s_cbranch_execz .LBB15_46
; %bb.45:                               ;   in Loop: Header=BB15_9 Depth=1
	v_add_co_u32 v23, s2, v10, v31
	s_wait_alu 0xf1ff
	v_add_co_ci_u32_e64 v24, null, 0, v21, s2
	global_load_u16 v3, v[23:24], off
	v_add_co_u32 v23, s2, v22, v31
	s_wait_alu 0xf1ff
	v_add_co_ci_u32_e64 v24, null, 0, v25, s2
	s_wait_loadcnt 0x0
	global_store_b16 v[23:24], v3, off
.LBB15_46:                              ;   in Loop: Header=BB15_9 Depth=1
	s_wait_alu 0xfffe
	s_or_b32 exec_lo, exec_lo, s3
	v_sub_nc_u32_e32 v6, s21, v19
	v_ashrrev_i32_e32 v20, 31, v19
	s_mov_b32 s35, exec_lo
	s_delay_alu instid0(VALU_DEP_2) | instskip(NEXT) | instid1(VALU_DEP_2)
	v_ashrrev_i32_e32 v3, 31, v6
	v_lshlrev_b64_e32 v[19:20], 1, v[19:20]
	s_delay_alu instid0(VALU_DEP_2) | instskip(NEXT) | instid1(VALU_DEP_2)
	v_lshrrev_b32_e32 v3, 29, v3
	v_add_co_u32 v10, s2, v10, v19
	s_wait_alu 0xf1ff
	s_delay_alu instid0(VALU_DEP_3) | instskip(NEXT) | instid1(VALU_DEP_3)
	v_add_co_ci_u32_e64 v23, null, v21, v20, s2
	v_add_nc_u32_e32 v3, v6, v3
	v_add_co_u32 v24, s2, v22, v19
	s_wait_alu 0xf1ff
	v_add_co_ci_u32_e64 v25, null, v25, v20, s2
	s_delay_alu instid0(VALU_DEP_3) | instskip(NEXT) | instid1(VALU_DEP_1)
	v_ashrrev_i32_e32 v26, 3, v3
	v_cmpx_lt_i32_e64 v1, v26
	s_cbranch_execz .LBB15_56
; %bb.47:                               ;   in Loop: Header=BB15_9 Depth=1
	v_dual_mov_b32 v3, v1 :: v_dual_mov_b32 v22, v2
	v_add_nc_u32_e32 v27, v26, v29
	v_mov_b32_e32 v21, v1
	s_mov_b32 s3, -1
	s_mov_b32 s36, exec_lo
	s_delay_alu instid0(VALU_DEP_2)
	v_cmpx_lt_u32_e32 31, v27
	s_cbranch_execz .LBB15_53
; %bb.48:                               ;   in Loop: Header=BB15_9 Depth=1
	v_lshrrev_b32_e32 v3, 5, v27
	s_mov_b32 s37, 0
	v_dual_mov_b32 v22, v8 :: v_dual_mov_b32 v21, v7
	s_delay_alu instid0(VALU_DEP_2) | instskip(NEXT) | instid1(VALU_DEP_1)
	v_add_nc_u32_e32 v32, 1, v3
	v_and_b32_e32 v27, 0xffffffe, v32
	s_delay_alu instid0(VALU_DEP_1)
	v_mov_b32_e32 v33, v27
.LBB15_49:                              ;   Parent Loop BB15_9 Depth=1
                                        ; =>  This Inner Loop Header: Depth=2
	s_delay_alu instid0(VALU_DEP_4) | instskip(NEXT) | instid1(VALU_DEP_2)
	v_mov_b32_e32 v3, v21
	v_add_nc_u32_e32 v33, -2, v33
	v_add_nc_u32_e32 v21, 64, v21
	s_delay_alu instid0(VALU_DEP_3) | instskip(SKIP_1) | instid1(VALU_DEP_1)
	v_lshlrev_b64_e32 v[42:43], 4, v[3:4]
	v_dual_mov_b32 v3, v22 :: v_dual_add_nc_u32 v22, 64, v22
	v_lshlrev_b64_e32 v[44:45], 4, v[3:4]
	s_delay_alu instid0(VALU_DEP_3) | instskip(SKIP_1) | instid1(VALU_DEP_4)
	v_add_co_u32 v34, s2, v10, v42
	s_wait_alu 0xf1ff
	v_add_co_ci_u32_e64 v35, null, v23, v43, s2
	v_add_co_u32 v42, s3, v24, v42
	s_delay_alu instid0(VALU_DEP_4)
	v_add_co_u32 v38, s2, v10, v44
	s_wait_alu 0xf1ff
	v_add_co_ci_u32_e64 v39, null, v23, v45, s2
	s_clause 0x1
	global_load_b128 v[34:37], v[34:35], off
	global_load_b128 v[38:41], v[38:39], off
	v_cmp_eq_u32_e64 s2, 0, v33
	s_wait_alu 0xfffe
	v_add_co_ci_u32_e64 v43, null, v25, v43, s3
	v_add_co_u32 v44, s3, v24, v44
	s_wait_alu 0xf1ff
	v_add_co_ci_u32_e64 v45, null, v25, v45, s3
	s_or_b32 s37, s2, s37
	s_wait_loadcnt 0x1
	global_store_b128 v[42:43], v[34:37], off
	s_wait_loadcnt 0x0
	global_store_b128 v[44:45], v[38:41], off
	s_and_not1_b32 exec_lo, exec_lo, s37
	s_cbranch_execnz .LBB15_49
; %bb.50:                               ;   in Loop: Header=BB15_9 Depth=1
	s_or_b32 exec_lo, exec_lo, s37
	s_mov_b32 s3, 0
	s_mov_b32 s37, exec_lo
                                        ; implicit-def: $vgpr21_vgpr22
	v_cmpx_ne_u32_e64 v32, v27
; %bb.51:                               ;   in Loop: Header=BB15_9 Depth=1
	v_lshl_or_b32 v3, v27, 5, v1
	v_mov_b32_e32 v22, v4
	s_mov_b32 s3, exec_lo
	s_delay_alu instid0(VALU_DEP_2)
	v_mov_b32_e32 v21, v3
; %bb.52:                               ;   in Loop: Header=BB15_9 Depth=1
	s_or_b32 exec_lo, exec_lo, s37
	s_wait_alu 0xfffe
	s_or_not1_b32 s3, s3, exec_lo
.LBB15_53:                              ;   in Loop: Header=BB15_9 Depth=1
	s_or_b32 exec_lo, exec_lo, s36
	s_wait_alu 0xfffe
	s_and_b32 exec_lo, exec_lo, s3
	s_cbranch_execz .LBB15_56
; %bb.54:                               ;   in Loop: Header=BB15_9 Depth=1
	v_lshlrev_b64_e32 v[21:22], 4, v[21:22]
	s_mov_b32 s36, 0
	s_delay_alu instid0(VALU_DEP_1) | instskip(SKIP_1) | instid1(VALU_DEP_2)
	v_add_co_u32 v27, s2, v21, v15
	s_wait_alu 0xf1ff
	v_add_co_ci_u32_e64 v32, null, v22, v16, s2
	v_add_co_u32 v15, s2, v13, v21
	s_wait_alu 0xf1ff
	v_add_co_ci_u32_e64 v16, null, v14, v22, s2
	;; [unrolled: 3-line block ×3, first 2 shown]
.LBB15_55:                              ;   Parent Loop BB15_9 Depth=1
                                        ; =>  This Inner Loop Header: Depth=2
	s_delay_alu instid0(VALU_DEP_2) | instskip(SKIP_1) | instid1(VALU_DEP_2)
	v_add_co_u32 v32, s2, v21, v19
	s_wait_alu 0xf1ff
	v_add_co_ci_u32_e64 v33, null, v22, v20, s2
	v_add_nc_u32_e32 v3, 32, v3
	v_add_co_u32 v36, s2, v15, v19
	global_load_b128 v[32:35], v[32:33], off
	s_wait_alu 0xf1ff
	v_add_co_ci_u32_e64 v37, null, v16, v20, s2
	v_add_co_u32 v15, s2, 0x200, v15
	s_wait_alu 0xf1ff
	v_add_co_ci_u32_e64 v16, null, 0, v16, s2
	v_cmp_ge_i32_e64 s2, v3, v26
	v_add_co_u32 v21, s3, 0x200, v21
	s_wait_alu 0xf1ff
	v_add_co_ci_u32_e64 v22, null, 0, v22, s3
	s_or_b32 s36, s2, s36
	s_wait_loadcnt 0x0
	global_store_b128 v[36:37], v[32:35], off
	s_and_not1_b32 exec_lo, exec_lo, s36
	s_cbranch_execnz .LBB15_55
.LBB15_56:                              ;   in Loop: Header=BB15_9 Depth=1
	s_or_b32 exec_lo, exec_lo, s35
	v_lshlrev_b32_e32 v3, 3, v26
	s_mov_b32 s35, exec_lo
	s_delay_alu instid0(VALU_DEP_1) | instskip(NEXT) | instid1(VALU_DEP_1)
	v_add_nc_u32_e32 v15, v3, v1
	v_cmpx_lt_i32_e64 v15, v6
	s_cbranch_execz .LBB15_64
; %bb.57:                               ;   in Loop: Header=BB15_9 Depth=1
	v_add_nc_u32_e32 v16, v8, v3
	s_mov_b32 s3, -1
	s_mov_b32 s36, exec_lo
	s_delay_alu instid0(VALU_DEP_1) | instskip(NEXT) | instid1(VALU_DEP_1)
	v_max_i32_e32 v16, v16, v6
	v_add_nc_u32_e32 v16, v16, v29
	s_delay_alu instid0(VALU_DEP_1) | instskip(NEXT) | instid1(VALU_DEP_1)
	v_sub_nc_u32_e32 v3, v16, v3
	v_cmpx_lt_u32_e32 0x5f, v3
	s_cbranch_execz .LBB15_61
; %bb.58:                               ;   in Loop: Header=BB15_9 Depth=1
	v_lshrrev_b32_e32 v3, 5, v3
	v_add_nc_u32_e32 v16, 32, v15
	s_mov_b32 s37, 0
	s_delay_alu instid0(VALU_DEP_1) | instskip(NEXT) | instid1(VALU_DEP_1)
	v_dual_mov_b32 v22, v16 :: v_dual_add_nc_u32 v3, 1, v3
	v_dual_mov_b32 v21, v15 :: v_dual_and_b32 v26, 0xffffffc, v3
	s_delay_alu instid0(VALU_DEP_1)
	v_mov_b32_e32 v27, v26
.LBB15_59:                              ;   Parent Loop BB15_9 Depth=1
                                        ; =>  This Inner Loop Header: Depth=2
	s_delay_alu instid0(VALU_DEP_2) | instskip(SKIP_1) | instid1(VALU_DEP_3)
	v_add_nc_u32_e32 v32, 64, v21
	v_ashrrev_i32_e32 v37, 31, v21
	v_dual_mov_b32 v36, v21 :: v_dual_add_nc_u32 v27, -4, v27
	v_add_nc_u32_e32 v34, 64, v22
	v_ashrrev_i32_e32 v39, 31, v22
	v_dual_mov_b32 v38, v22 :: v_dual_add_nc_u32 v21, 0x80, v21
	v_ashrrev_i32_e32 v33, 31, v32
	v_lshlrev_b64_e32 v[36:37], 1, v[36:37]
	v_ashrrev_i32_e32 v35, 31, v34
	s_delay_alu instid0(VALU_DEP_4) | instskip(SKIP_2) | instid1(VALU_DEP_4)
	v_lshlrev_b64_e32 v[38:39], 1, v[38:39]
	v_add_nc_u32_e32 v22, 0x80, v22
	v_lshlrev_b64_e32 v[32:33], 1, v[32:33]
	v_lshlrev_b64_e32 v[34:35], 1, v[34:35]
	v_add_co_u32 v40, s2, v10, v36
	s_wait_alu 0xf1ff
	v_add_co_ci_u32_e64 v41, null, v23, v37, s2
	v_add_co_u32 v42, s2, v10, v38
	s_wait_alu 0xf1ff
	v_add_co_ci_u32_e64 v43, null, v23, v39, s2
	;; [unrolled: 3-line block ×4, first 2 shown]
	s_clause 0x3
	global_load_u16 v16, v[40:41], off
	global_load_u16 v40, v[42:43], off
	;; [unrolled: 1-line block ×4, first 2 shown]
	v_add_co_u32 v36, s3, v24, v36
	s_wait_alu 0xf1fe
	v_add_co_ci_u32_e64 v37, null, v25, v37, s3
	v_add_co_u32 v38, s3, v24, v38
	v_cmp_eq_u32_e64 s2, 0, v27
	s_wait_alu 0xf1ff
	v_add_co_ci_u32_e64 v39, null, v25, v39, s3
	v_add_co_u32 v32, s3, v24, v32
	s_wait_alu 0xf1ff
	v_add_co_ci_u32_e64 v33, null, v25, v33, s3
	v_add_co_u32 v34, s3, v24, v34
	s_wait_alu 0xf1ff
	v_add_co_ci_u32_e64 v35, null, v25, v35, s3
	s_or_b32 s37, s2, s37
	s_wait_loadcnt 0x3
	global_store_b16 v[36:37], v16, off
	s_wait_loadcnt 0x2
	global_store_b16 v[38:39], v40, off
	;; [unrolled: 2-line block ×4, first 2 shown]
	s_and_not1_b32 exec_lo, exec_lo, s37
	s_cbranch_execnz .LBB15_59
; %bb.60:                               ;   in Loop: Header=BB15_9 Depth=1
	s_or_b32 exec_lo, exec_lo, s37
	v_cmp_ne_u32_e64 s2, v3, v26
	v_lshl_add_u32 v15, v26, 5, v15
	s_or_not1_b32 s3, s2, exec_lo
.LBB15_61:                              ;   in Loop: Header=BB15_9 Depth=1
	s_or_b32 exec_lo, exec_lo, s36
	s_wait_alu 0xfffe
	s_and_b32 exec_lo, exec_lo, s3
	s_cbranch_execz .LBB15_64
; %bb.62:                               ;   in Loop: Header=BB15_9 Depth=1
	v_ashrrev_i32_e32 v16, 31, v15
	s_mov_b32 s36, 0
	s_delay_alu instid0(VALU_DEP_1) | instskip(NEXT) | instid1(VALU_DEP_1)
	v_lshlrev_b64_e32 v[21:22], 1, v[15:16]
	v_add_co_u32 v3, s2, v19, v21
	s_wait_alu 0xf1ff
	s_delay_alu instid0(VALU_DEP_2)
	v_add_co_ci_u32_e64 v10, null, v20, v22, s2
.LBB15_63:                              ;   Parent Loop BB15_9 Depth=1
                                        ; =>  This Inner Loop Header: Depth=2
	s_delay_alu instid0(VALU_DEP_2) | instskip(SKIP_1) | instid1(VALU_DEP_2)
	v_add_co_u32 v19, s2, v17, v3
	s_wait_alu 0xf1ff
	v_add_co_ci_u32_e64 v20, null, v18, v10, s2
	v_add_nc_u32_e32 v15, 32, v15
	global_load_u16 v16, v[19:20], off
	v_add_co_u32 v19, s2, v13, v3
	s_wait_alu 0xf1ff
	v_add_co_ci_u32_e64 v20, null, v14, v10, s2
	v_cmp_ge_i32_e64 s2, v15, v6
	v_add_co_u32 v3, s3, v3, 64
	s_wait_alu 0xf1ff
	v_add_co_ci_u32_e64 v10, null, 0, v10, s3
	s_or_b32 s36, s2, s36
	s_wait_loadcnt 0x0
	global_store_b16 v[19:20], v16, off
	s_and_not1_b32 exec_lo, exec_lo, s36
	s_cbranch_execnz .LBB15_63
.LBB15_64:                              ;   in Loop: Header=BB15_9 Depth=1
	s_or_b32 exec_lo, exec_lo, s35
                                        ; implicit-def: $vgpr17_vgpr18
                                        ; implicit-def: $vgpr10
                                        ; implicit-def: $vgpr21
                                        ; implicit-def: $vgpr22
                                        ; implicit-def: $vgpr25
.LBB15_65:                              ;   in Loop: Header=BB15_9 Depth=1
	s_and_not1_saveexec_b32 s34, s34
	s_cbranch_execz .LBB15_8
; %bb.66:                               ;   in Loop: Header=BB15_9 Depth=1
	s_and_saveexec_b32 s35, vcc_lo
	s_cbranch_execz .LBB15_7
; %bb.67:                               ;   in Loop: Header=BB15_9 Depth=1
	v_dual_mov_b32 v3, v1 :: v_dual_mov_b32 v16, v2
	v_mov_b32_e32 v15, v1
	s_mov_b32 s2, -1
	s_and_saveexec_b32 s36, s0
	s_cbranch_execz .LBB15_73
; %bb.68:                               ;   in Loop: Header=BB15_9 Depth=1
	v_mov_b32_e32 v16, v8
	v_dual_mov_b32 v6, v30 :: v_dual_mov_b32 v15, v7
	s_mov_b32 s37, 0
.LBB15_69:                              ;   Parent Loop BB15_9 Depth=1
                                        ; =>  This Inner Loop Header: Depth=2
	s_delay_alu instid0(VALU_DEP_1) | instskip(SKIP_1) | instid1(VALU_DEP_2)
	v_dual_mov_b32 v3, v15 :: v_dual_add_nc_u32 v6, -2, v6
	v_add_nc_u32_e32 v15, 64, v15
	v_lshlrev_b64_e32 v[19:20], 4, v[3:4]
	v_dual_mov_b32 v3, v16 :: v_dual_add_nc_u32 v16, 64, v16
	s_delay_alu instid0(VALU_DEP_1) | instskip(NEXT) | instid1(VALU_DEP_3)
	v_lshlrev_b64_e32 v[23:24], 4, v[3:4]
	v_add_co_u32 v26, s2, v10, v19
	s_wait_alu 0xf1fe
	s_delay_alu instid0(VALU_DEP_4) | instskip(SKIP_1) | instid1(VALU_DEP_4)
	v_add_co_ci_u32_e64 v27, null, v21, v20, s2
	v_add_co_u32 v19, s3, v22, v19
	v_add_co_u32 v36, s2, v10, v23
	s_wait_alu 0xf1ff
	v_add_co_ci_u32_e64 v37, null, v21, v24, s2
	s_clause 0x1
	global_load_b128 v[32:35], v[26:27], off
	global_load_b128 v[36:39], v[36:37], off
	v_cmp_eq_u32_e64 s2, 0, v6
	v_add_co_ci_u32_e64 v20, null, v25, v20, s3
	v_add_co_u32 v23, s3, v22, v23
	s_wait_alu 0xf1ff
	v_add_co_ci_u32_e64 v24, null, v25, v24, s3
	s_or_b32 s37, s2, s37
	s_wait_loadcnt 0x1
	global_store_b128 v[19:20], v[32:35], off
	s_wait_loadcnt 0x0
	global_store_b128 v[23:24], v[36:39], off
	s_and_not1_b32 exec_lo, exec_lo, s37
	s_cbranch_execnz .LBB15_69
; %bb.70:                               ;   in Loop: Header=BB15_9 Depth=1
	s_or_b32 exec_lo, exec_lo, s37
	s_mov_b32 s2, 0
                                        ; implicit-def: $vgpr15_vgpr16
	s_and_saveexec_b32 s3, s1
; %bb.71:                               ;   in Loop: Header=BB15_9 Depth=1
	v_mov_b32_e32 v10, v4
	s_mov_b32 s2, exec_lo
	s_delay_alu instid0(VALU_DEP_1)
	v_dual_mov_b32 v16, v10 :: v_dual_mov_b32 v15, v9
; %bb.72:                               ;   in Loop: Header=BB15_9 Depth=1
	s_wait_alu 0xfffe
	s_or_b32 exec_lo, exec_lo, s3
	v_mov_b32_e32 v3, v9
	s_or_not1_b32 s2, s2, exec_lo
.LBB15_73:                              ;   in Loop: Header=BB15_9 Depth=1
	s_or_b32 exec_lo, exec_lo, s36
	s_wait_alu 0xfffe
	s_and_b32 exec_lo, exec_lo, s2
	s_cbranch_execz .LBB15_7
; %bb.74:                               ;   in Loop: Header=BB15_9 Depth=1
	v_lshlrev_b64_e32 v[15:16], 4, v[15:16]
	v_dual_mov_b32 v20, v14 :: v_dual_mov_b32 v19, v13
	s_mov_b32 s36, 0
.LBB15_75:                              ;   Parent Loop BB15_9 Depth=1
                                        ; =>  This Inner Loop Header: Depth=2
	s_delay_alu instid0(VALU_DEP_2) | instskip(SKIP_1) | instid1(VALU_DEP_3)
	v_add_co_u32 v21, s2, v17, v15
	s_wait_alu 0xf1ff
	v_add_co_ci_u32_e64 v22, null, v18, v16, s2
	v_add_nc_u32_e32 v3, 32, v3
	v_add_co_u32 v25, s2, v19, v15
	global_load_b128 v[21:24], v[21:22], off
	s_wait_alu 0xf1ff
	v_add_co_ci_u32_e64 v26, null, v20, v16, s2
	v_add_co_u32 v19, s2, 0x200, v19
	s_wait_alu 0xf1ff
	v_add_co_ci_u32_e64 v20, null, 0, v20, s2
	v_cmp_le_i32_e64 s2, s30, v3
	v_add_co_u32 v17, s3, 0x200, v17
	s_wait_alu 0xf1ff
	v_add_co_ci_u32_e64 v18, null, 0, v18, s3
	s_or_b32 s36, s2, s36
	s_wait_loadcnt 0x0
	global_store_b128 v[25:26], v[21:24], off
	s_and_not1_b32 exec_lo, exec_lo, s36
	s_cbranch_execnz .LBB15_75
	s_branch .LBB15_7
.LBB15_76:
	s_or_b32 exec_lo, exec_lo, s29
	s_mov_b32 s0, 0
.LBB15_77:
	s_wait_alu 0xfffe
	s_and_not1_b32 vcc_lo, exec_lo, s0
	s_cbranch_vccnz .LBB15_139
; %bb.78:
	s_and_b32 s0, s18, 15
	s_mov_b32 s1, 0
	s_wait_alu 0xfffe
	s_cmp_lg_u64 s[0:1], 0
	s_mul_i32 s1, s21, s20
	s_cselect_b32 s0, -1, 0
	s_wait_alu 0xfffe
	s_and_b32 s2, s1, 7
	s_wait_alu 0xfffe
	s_cmp_eq_u32 s2, 0
	s_cselect_b32 s24, -1, 0
	s_cmp_lg_u32 s2, 0
	s_cselect_b32 s2, -1, 0
	s_wait_alu 0xfffe
	s_or_b32 s0, s0, s2
	s_wait_alu 0xfffe
	s_and_b32 vcc_lo, exec_lo, s0
	s_mov_b32 s0, -1
	s_cbranch_vccz .LBB15_99
; %bb.79:
	s_sub_co_i32 s0, 0, s18
	s_mov_b32 s3, exec_lo
	s_wait_alu 0xfffe
	s_bfe_u32 s0, s0, 0x30001
	s_wait_alu 0xfffe
	s_min_i32 s2, s0, s1
	s_wait_alu 0xfffe
	v_cmpx_gt_i32_e64 s2, v0
	s_cbranch_execz .LBB15_82
; %bb.80:
	v_dual_mov_b32 v2, 0 :: v_dual_lshlrev_b32 v1, 1, v0
	v_mov_b32_e32 v3, v0
	s_mov_b32 s16, 0
	s_lshl_b32 s17, s28, 1
.LBB15_81:                              ; =>This Inner Loop Header: Depth=1
	s_delay_alu instid0(VALU_DEP_2)
	v_add_co_u32 v4, vcc_lo, s18, v1
	s_wait_alu 0xfffd
	v_add_co_ci_u32_e64 v5, null, s19, v2, vcc_lo
	v_add_nc_u32_e32 v3, s28, v3
	global_load_u16 v6, v[4:5], off
	v_add_co_u32 v4, vcc_lo, s22, v1
	s_wait_alu 0xfffd
	v_add_co_ci_u32_e64 v5, null, s23, v2, vcc_lo
	v_cmp_le_i32_e32 vcc_lo, s2, v3
	s_wait_alu 0xfffe
	v_add_co_u32 v1, s0, v1, s17
	s_wait_alu 0xf1ff
	v_add_co_ci_u32_e64 v2, null, 0, v2, s0
	s_or_b32 s16, vcc_lo, s16
	s_wait_loadcnt 0x0
	global_store_b16 v[4:5], v6, off
	s_wait_alu 0xfffe
	s_and_not1_b32 exec_lo, exec_lo, s16
	s_cbranch_execnz .LBB15_81
.LBB15_82:
	s_or_b32 exec_lo, exec_lo, s3
	s_sub_co_i32 s25, s1, s2
	s_ashr_i32 s3, s2, 31
	s_wait_alu 0xfffe
	s_ashr_i32 s0, s25, 31
	s_lshl_b64 s[2:3], s[2:3], 1
	s_wait_alu 0xfffe
	s_lshr_b32 s0, s0, 29
	s_add_nc_u64 s[16:17], s[18:19], s[2:3]
	s_wait_alu 0xfffe
	s_add_co_i32 s0, s25, s0
	s_add_nc_u64 s[20:21], s[22:23], s[2:3]
	s_wait_alu 0xfffe
	s_ashr_i32 s26, s0, 3
	s_mov_b32 s27, exec_lo
	s_wait_alu 0xfffe
	v_cmpx_gt_i32_e64 s26, v0
	s_cbranch_execz .LBB15_90
; %bb.83:
	v_add_nc_u32_e32 v1, 1, v0
	s_and_b32 s0, s28, 0xffff
	s_wait_alu 0xfffe
	s_cmp_eq_u32 s0, 1
	s_cselect_b32 s0, -1, 0
	v_max_i32_e32 v2, s26, v1
	s_delay_alu instid0(VALU_DEP_1) | instskip(SKIP_1) | instid1(VALU_DEP_2)
	v_sub_nc_u32_e32 v5, v2, v0
	v_mov_b32_e32 v2, v0
	v_cmp_lt_u32_e32 vcc_lo, 1, v5
	s_wait_alu 0xfffe
	s_and_b32 s30, vcc_lo, s0
	s_mov_b32 s0, -1
	s_wait_alu 0xfffe
	s_and_saveexec_b32 s29, s30
	s_cbranch_execz .LBB15_87
; %bb.84:
	v_and_b32_e32 v6, -2, v5
	v_dual_mov_b32 v4, v1 :: v_dual_mov_b32 v3, v0
	v_mov_b32_e32 v2, 0
	s_mov_b32 s30, 0
	s_delay_alu instid0(VALU_DEP_3)
	v_mov_b32_e32 v7, v6
.LBB15_85:                              ; =>This Inner Loop Header: Depth=1
	s_delay_alu instid0(VALU_DEP_3) | instskip(NEXT) | instid1(VALU_DEP_2)
	v_mov_b32_e32 v1, v3
	v_add_nc_u32_e32 v7, -2, v7
	v_add_nc_u32_e32 v3, 2, v3
	s_delay_alu instid0(VALU_DEP_3) | instskip(SKIP_1) | instid1(VALU_DEP_1)
	v_lshlrev_b64_e32 v[16:17], 4, v[1:2]
	v_dual_mov_b32 v1, v4 :: v_dual_add_nc_u32 v4, 2, v4
	v_lshlrev_b64_e32 v[18:19], 4, v[1:2]
	s_delay_alu instid0(VALU_DEP_3) | instskip(SKIP_1) | instid1(VALU_DEP_4)
	v_add_co_u32 v8, vcc_lo, s16, v16
	s_wait_alu 0xfffd
	v_add_co_ci_u32_e64 v9, null, s17, v17, vcc_lo
	v_add_co_u32 v16, s0, s20, v16
	s_delay_alu instid0(VALU_DEP_4)
	v_add_co_u32 v12, vcc_lo, s16, v18
	s_wait_alu 0xfffd
	v_add_co_ci_u32_e64 v13, null, s17, v19, vcc_lo
	s_clause 0x1
	global_load_b128 v[8:11], v[8:9], off
	global_load_b128 v[12:15], v[12:13], off
	v_cmp_eq_u32_e32 vcc_lo, 0, v7
	s_wait_alu 0xf1ff
	v_add_co_ci_u32_e64 v17, null, s21, v17, s0
	v_add_co_u32 v18, s0, s20, v18
	s_wait_alu 0xf1ff
	v_add_co_ci_u32_e64 v19, null, s21, v19, s0
	s_wait_alu 0xfffe
	s_or_b32 s30, vcc_lo, s30
	s_wait_loadcnt 0x1
	global_store_b128 v[16:17], v[8:11], off
	s_wait_loadcnt 0x0
	global_store_b128 v[18:19], v[12:15], off
	s_wait_alu 0xfffe
	s_and_not1_b32 exec_lo, exec_lo, s30
	s_cbranch_execnz .LBB15_85
; %bb.86:
	s_or_b32 exec_lo, exec_lo, s30
	v_cmp_ne_u32_e32 vcc_lo, v5, v6
	v_add_nc_u32_e32 v2, v0, v6
	s_or_not1_b32 s0, vcc_lo, exec_lo
.LBB15_87:
	s_wait_alu 0xfffe
	s_or_b32 exec_lo, exec_lo, s29
	s_delay_alu instid0(SALU_CYCLE_1)
	s_and_b32 exec_lo, exec_lo, s0
	s_cbranch_execz .LBB15_90
; %bb.88:
	v_mov_b32_e32 v3, 0
	s_add_nc_u64 s[30:31], s[12:13], s[14:15]
	s_wait_alu 0xfffe
	s_add_nc_u64 s[8:9], s[8:9], s[30:31]
	s_delay_alu instid0(VALU_DEP_1) | instskip(SKIP_1) | instid1(VALU_DEP_1)
	v_lshlrev_b64_e32 v[4:5], 4, v[2:3]
	s_wait_alu 0xfffe
	v_add_co_u32 v1, vcc_lo, s8, v4
	s_wait_alu 0xfffd
	s_delay_alu instid0(VALU_DEP_2)
	v_add_co_ci_u32_e64 v3, null, s9, v5, vcc_lo
	v_add_co_u32 v4, vcc_lo, s18, v4
	s_wait_alu 0xfffd
	v_add_co_ci_u32_e64 v5, null, s19, v5, vcc_lo
	s_mov_b32 s8, 0
	s_lshl_b32 s9, s28, 4
.LBB15_89:                              ; =>This Inner Loop Header: Depth=1
	v_add_co_u32 v6, vcc_lo, v4, s2
	s_wait_alu 0xfffd
	v_add_co_ci_u32_e64 v7, null, s3, v5, vcc_lo
	v_add_nc_u32_e32 v2, s28, v2
	v_add_co_u32 v10, vcc_lo, v1, s2
	global_load_b128 v[6:9], v[6:7], off
	s_wait_alu 0xfffd
	v_add_co_ci_u32_e64 v11, null, s3, v3, vcc_lo
	s_wait_alu 0xfffe
	v_add_co_u32 v1, vcc_lo, v1, s9
	s_wait_alu 0xfffd
	v_add_co_ci_u32_e64 v3, null, 0, v3, vcc_lo
	v_cmp_le_i32_e32 vcc_lo, s26, v2
	v_add_co_u32 v4, s0, v4, s9
	s_wait_alu 0xf1ff
	v_add_co_ci_u32_e64 v5, null, 0, v5, s0
	s_or_b32 s8, vcc_lo, s8
	s_wait_loadcnt 0x0
	global_store_b128 v[10:11], v[6:9], off
	s_wait_alu 0xfffe
	s_and_not1_b32 exec_lo, exec_lo, s8
	s_cbranch_execnz .LBB15_89
.LBB15_90:
	s_or_b32 exec_lo, exec_lo, s27
	v_lshl_add_u32 v1, s26, 3, v0
	s_mov_b32 s8, exec_lo
	s_delay_alu instid0(VALU_DEP_1)
	v_cmpx_gt_i32_e64 s25, v1
	s_cbranch_execz .LBB15_98
; %bb.91:
	v_add_nc_u32_e32 v2, 1, v1
	s_and_b32 s0, s28, 0xffff
	s_wait_alu 0xfffe
	s_cmp_eq_u32 s0, 1
	s_cselect_b32 s0, -1, 0
	v_max_i32_e32 v2, s25, v2
	s_delay_alu instid0(VALU_DEP_1) | instskip(NEXT) | instid1(VALU_DEP_1)
	v_sub_nc_u32_e32 v4, v2, v1
	v_cmp_lt_u32_e32 vcc_lo, 3, v4
	s_wait_alu 0xfffe
	s_and_b32 s26, vcc_lo, s0
	s_mov_b32 s0, -1
	s_wait_alu 0xfffe
	s_and_saveexec_b32 s9, s26
	s_cbranch_execz .LBB15_95
; %bb.92:
	v_dual_mov_b32 v2, v1 :: v_dual_and_b32 v5, -4, v4
	s_mov_b32 s26, 0
	s_delay_alu instid0(VALU_DEP_1)
	v_mov_b32_e32 v6, v5
.LBB15_93:                              ; =>This Inner Loop Header: Depth=1
	s_delay_alu instid0(VALU_DEP_2) | instskip(NEXT) | instid1(VALU_DEP_2)
	v_ashrrev_i32_e32 v3, 31, v2
	v_add_nc_u32_e32 v6, -4, v6
	s_delay_alu instid0(VALU_DEP_2) | instskip(SKIP_1) | instid1(VALU_DEP_2)
	v_lshlrev_b64_e32 v[7:8], 1, v[2:3]
	v_add_nc_u32_e32 v2, 4, v2
	v_add_co_u32 v9, vcc_lo, s16, v7
	s_wait_alu 0xfffd
	s_delay_alu instid0(VALU_DEP_3)
	v_add_co_ci_u32_e64 v10, null, s17, v8, vcc_lo
	v_cmp_eq_u32_e32 vcc_lo, 0, v6
	v_add_co_u32 v7, s0, s20, v7
	global_load_b64 v[9:10], v[9:10], off
	s_wait_alu 0xf1ff
	v_add_co_ci_u32_e64 v8, null, s21, v8, s0
	s_wait_alu 0xfffe
	s_or_b32 s26, vcc_lo, s26
	s_wait_loadcnt 0x0
	global_store_b64 v[7:8], v[9:10], off
	s_wait_alu 0xfffe
	s_and_not1_b32 exec_lo, exec_lo, s26
	s_cbranch_execnz .LBB15_93
; %bb.94:
	s_or_b32 exec_lo, exec_lo, s26
	v_cmp_ne_u32_e32 vcc_lo, v4, v5
	v_add_nc_u32_e32 v1, v1, v5
	s_or_not1_b32 s0, vcc_lo, exec_lo
.LBB15_95:
	s_wait_alu 0xfffe
	s_or_b32 exec_lo, exec_lo, s9
	s_delay_alu instid0(SALU_CYCLE_1)
	s_and_b32 exec_lo, exec_lo, s0
	s_cbranch_execz .LBB15_98
; %bb.96:
	v_ashrrev_i32_e32 v2, 31, v1
	s_delay_alu instid0(VALU_DEP_1) | instskip(NEXT) | instid1(VALU_DEP_1)
	v_lshlrev_b64_e32 v[2:3], 1, v[1:2]
	v_add_co_u32 v2, vcc_lo, s2, v2
	s_wait_alu 0xfffd
	s_delay_alu instid0(VALU_DEP_2)
	v_add_co_ci_u32_e64 v3, null, s3, v3, vcc_lo
	s_lshl_b32 s2, s28, 1
	s_mov_b32 s3, 0
.LBB15_97:                              ; =>This Inner Loop Header: Depth=1
	v_add_co_u32 v4, vcc_lo, s18, v2
	s_wait_alu 0xfffd
	v_add_co_ci_u32_e64 v5, null, s19, v3, vcc_lo
	v_add_nc_u32_e32 v1, s28, v1
	global_load_u16 v6, v[4:5], off
	v_add_co_u32 v4, vcc_lo, s22, v2
	s_wait_alu 0xfffd
	v_add_co_ci_u32_e64 v5, null, s23, v3, vcc_lo
	v_cmp_le_i32_e32 vcc_lo, s25, v1
	s_wait_alu 0xfffe
	v_add_co_u32 v2, s0, v2, s2
	s_wait_alu 0xf1ff
	v_add_co_ci_u32_e64 v3, null, 0, v3, s0
	s_or_b32 s3, vcc_lo, s3
	s_wait_loadcnt 0x0
	global_store_b16 v[4:5], v6, off
	s_wait_alu 0xfffe
	s_and_not1_b32 exec_lo, exec_lo, s3
	s_cbranch_execnz .LBB15_97
.LBB15_98:
	s_wait_alu 0xfffe
	s_or_b32 exec_lo, exec_lo, s8
	s_mov_b32 s0, 0
.LBB15_99:
	s_wait_alu 0xfffe
	s_and_b32 vcc_lo, exec_lo, s0
	s_wait_alu 0xfffe
	s_cbranch_vccz .LBB15_109
; %bb.100:
	s_ashr_i32 s2, s1, 3
	s_mov_b32 s3, exec_lo
	s_wait_alu 0xfffe
	v_cmpx_gt_i32_e64 s2, v0
	s_cbranch_execz .LBB15_108
; %bb.101:
	v_add_nc_u32_e32 v1, 1, v0
	s_and_b32 s0, s28, 0xffff
	s_wait_alu 0xfffe
	s_cmp_eq_u32 s0, 1
	s_cselect_b32 s0, -1, 0
	v_max_i32_e32 v2, s2, v1
	s_delay_alu instid0(VALU_DEP_1) | instskip(SKIP_1) | instid1(VALU_DEP_2)
	v_sub_nc_u32_e32 v5, v2, v0
	v_mov_b32_e32 v2, v0
	v_cmp_lt_u32_e32 vcc_lo, 1, v5
	s_wait_alu 0xfffe
	s_and_b32 s9, vcc_lo, s0
	s_mov_b32 s0, -1
	s_wait_alu 0xfffe
	s_and_saveexec_b32 s8, s9
	s_cbranch_execz .LBB15_105
; %bb.102:
	v_and_b32_e32 v6, -2, v5
	v_dual_mov_b32 v4, v1 :: v_dual_mov_b32 v3, v0
	v_mov_b32_e32 v2, 0
	s_mov_b32 s9, 0
	s_delay_alu instid0(VALU_DEP_3)
	v_mov_b32_e32 v7, v6
.LBB15_103:                             ; =>This Inner Loop Header: Depth=1
	s_delay_alu instid0(VALU_DEP_3) | instskip(NEXT) | instid1(VALU_DEP_2)
	v_mov_b32_e32 v1, v3
	v_add_nc_u32_e32 v7, -2, v7
	v_add_nc_u32_e32 v3, 2, v3
	s_delay_alu instid0(VALU_DEP_3) | instskip(SKIP_1) | instid1(VALU_DEP_1)
	v_lshlrev_b64_e32 v[16:17], 4, v[1:2]
	v_dual_mov_b32 v1, v4 :: v_dual_add_nc_u32 v4, 2, v4
	v_lshlrev_b64_e32 v[18:19], 4, v[1:2]
	s_delay_alu instid0(VALU_DEP_3) | instskip(SKIP_1) | instid1(VALU_DEP_4)
	v_add_co_u32 v8, vcc_lo, s18, v16
	s_wait_alu 0xfffd
	v_add_co_ci_u32_e64 v9, null, s19, v17, vcc_lo
	v_add_co_u32 v16, s0, s22, v16
	s_delay_alu instid0(VALU_DEP_4)
	v_add_co_u32 v12, vcc_lo, s18, v18
	s_wait_alu 0xfffd
	v_add_co_ci_u32_e64 v13, null, s19, v19, vcc_lo
	s_clause 0x1
	global_load_b128 v[8:11], v[8:9], off
	global_load_b128 v[12:15], v[12:13], off
	v_cmp_eq_u32_e32 vcc_lo, 0, v7
	s_wait_alu 0xf1ff
	v_add_co_ci_u32_e64 v17, null, s23, v17, s0
	v_add_co_u32 v18, s0, s22, v18
	s_wait_alu 0xf1ff
	v_add_co_ci_u32_e64 v19, null, s23, v19, s0
	s_wait_alu 0xfffe
	s_or_b32 s9, vcc_lo, s9
	s_wait_loadcnt 0x1
	global_store_b128 v[16:17], v[8:11], off
	s_wait_loadcnt 0x0
	global_store_b128 v[18:19], v[12:15], off
	s_wait_alu 0xfffe
	s_and_not1_b32 exec_lo, exec_lo, s9
	s_cbranch_execnz .LBB15_103
; %bb.104:
	s_or_b32 exec_lo, exec_lo, s9
	v_cmp_ne_u32_e32 vcc_lo, v5, v6
	v_add_nc_u32_e32 v2, v0, v6
	s_or_not1_b32 s0, vcc_lo, exec_lo
.LBB15_105:
	s_wait_alu 0xfffe
	s_or_b32 exec_lo, exec_lo, s8
	s_delay_alu instid0(SALU_CYCLE_1)
	s_and_b32 exec_lo, exec_lo, s0
	s_cbranch_execz .LBB15_108
; %bb.106:
	v_mov_b32_e32 v3, 0
	s_mov_b32 s8, 0
	s_lshl_b32 s9, s28, 4
	s_delay_alu instid0(VALU_DEP_1)
	v_lshlrev_b64_e32 v[3:4], 4, v[2:3]
.LBB15_107:                             ; =>This Inner Loop Header: Depth=1
	s_delay_alu instid0(VALU_DEP_1) | instskip(SKIP_1) | instid1(VALU_DEP_2)
	v_add_co_u32 v5, vcc_lo, s18, v3
	s_wait_alu 0xfffd
	v_add_co_ci_u32_e64 v6, null, s19, v4, vcc_lo
	v_add_nc_u32_e32 v2, s28, v2
	v_add_co_u32 v9, vcc_lo, s22, v3
	global_load_b128 v[5:8], v[5:6], off
	s_wait_alu 0xfffd
	v_add_co_ci_u32_e64 v10, null, s23, v4, vcc_lo
	v_cmp_le_i32_e32 vcc_lo, s2, v2
	s_wait_alu 0xfffe
	v_add_co_u32 v3, s0, v3, s9
	s_wait_alu 0xf1ff
	v_add_co_ci_u32_e64 v4, null, 0, v4, s0
	s_or_b32 s8, vcc_lo, s8
	s_wait_loadcnt 0x0
	global_store_b128 v[9:10], v[5:8], off
	s_wait_alu 0xfffe
	s_and_not1_b32 exec_lo, exec_lo, s8
	s_cbranch_execnz .LBB15_107
.LBB15_108:
	s_or_b32 exec_lo, exec_lo, s3
.LBB15_109:
	s_and_b32 s2, s4, 15
	s_mov_b32 s3, 0
	s_wait_alu 0xfffe
	s_cmp_lg_u64 s[2:3], 0
	s_cselect_b32 s0, -1, 0
	s_xor_b32 s2, s24, -1
	s_wait_alu 0xfffe
	s_or_b32 s0, s2, s0
	s_wait_alu 0xfffe
	s_and_b32 vcc_lo, exec_lo, s0
	s_mov_b32 s0, -1
	s_wait_alu 0xfffe
	s_cbranch_vccz .LBB15_130
; %bb.110:
	s_sub_co_i32 s0, 0, s4
	s_mov_b32 s3, exec_lo
	s_wait_alu 0xfffe
	s_bfe_u32 s0, s0, 0x30001
	s_wait_alu 0xfffe
	s_min_i32 s2, s0, s1
	s_wait_alu 0xfffe
	v_cmpx_gt_i32_e64 s2, v0
	s_cbranch_execz .LBB15_113
; %bb.111:
	v_dual_mov_b32 v2, 0 :: v_dual_lshlrev_b32 v1, 1, v0
	v_mov_b32_e32 v3, v0
	s_mov_b32 s8, 0
	s_lshl_b32 s9, s28, 1
.LBB15_112:                             ; =>This Inner Loop Header: Depth=1
	s_delay_alu instid0(VALU_DEP_2)
	v_add_co_u32 v4, vcc_lo, s4, v1
	s_wait_alu 0xfffd
	v_add_co_ci_u32_e64 v5, null, s5, v2, vcc_lo
	v_add_nc_u32_e32 v3, s28, v3
	global_load_u16 v6, v[4:5], off
	v_add_co_u32 v4, vcc_lo, s6, v1
	s_wait_alu 0xfffd
	v_add_co_ci_u32_e64 v5, null, s7, v2, vcc_lo
	v_cmp_le_i32_e32 vcc_lo, s2, v3
	s_wait_alu 0xfffe
	v_add_co_u32 v1, s0, v1, s9
	s_wait_alu 0xf1ff
	v_add_co_ci_u32_e64 v2, null, 0, v2, s0
	s_or_b32 s8, vcc_lo, s8
	s_wait_loadcnt 0x0
	global_store_b16 v[4:5], v6, off
	s_wait_alu 0xfffe
	s_and_not1_b32 exec_lo, exec_lo, s8
	s_cbranch_execnz .LBB15_112
.LBB15_113:
	s_or_b32 exec_lo, exec_lo, s3
	s_sub_co_i32 s18, s1, s2
	s_ashr_i32 s3, s2, 31
	s_wait_alu 0xfffe
	s_ashr_i32 s0, s18, 31
	s_lshl_b64 s[2:3], s[2:3], 1
	s_wait_alu 0xfffe
	s_lshr_b32 s0, s0, 29
	s_add_nc_u64 s[8:9], s[4:5], s[2:3]
	s_wait_alu 0xfffe
	s_add_co_i32 s0, s18, s0
	s_add_nc_u64 s[16:17], s[6:7], s[2:3]
	s_wait_alu 0xfffe
	s_ashr_i32 s19, s0, 3
	s_mov_b32 s20, exec_lo
	s_wait_alu 0xfffe
	v_cmpx_gt_i32_e64 s19, v0
	s_cbranch_execz .LBB15_121
; %bb.114:
	v_add_nc_u32_e32 v1, 1, v0
	s_and_b32 s0, s28, 0xffff
	s_wait_alu 0xfffe
	s_cmp_eq_u32 s0, 1
	s_cselect_b32 s0, -1, 0
	v_max_i32_e32 v2, s19, v1
	s_delay_alu instid0(VALU_DEP_1) | instskip(SKIP_1) | instid1(VALU_DEP_2)
	v_sub_nc_u32_e32 v5, v2, v0
	v_mov_b32_e32 v2, v0
	v_cmp_lt_u32_e32 vcc_lo, 1, v5
	s_wait_alu 0xfffe
	s_and_b32 s22, vcc_lo, s0
	s_mov_b32 s0, -1
	s_wait_alu 0xfffe
	s_and_saveexec_b32 s21, s22
	s_cbranch_execz .LBB15_118
; %bb.115:
	v_and_b32_e32 v6, -2, v5
	v_dual_mov_b32 v4, v1 :: v_dual_mov_b32 v3, v0
	v_mov_b32_e32 v2, 0
	s_mov_b32 s22, 0
	s_delay_alu instid0(VALU_DEP_3)
	v_mov_b32_e32 v7, v6
.LBB15_116:                             ; =>This Inner Loop Header: Depth=1
	s_delay_alu instid0(VALU_DEP_3) | instskip(NEXT) | instid1(VALU_DEP_2)
	v_mov_b32_e32 v1, v3
	v_add_nc_u32_e32 v7, -2, v7
	v_add_nc_u32_e32 v3, 2, v3
	s_delay_alu instid0(VALU_DEP_3) | instskip(SKIP_1) | instid1(VALU_DEP_1)
	v_lshlrev_b64_e32 v[16:17], 4, v[1:2]
	v_dual_mov_b32 v1, v4 :: v_dual_add_nc_u32 v4, 2, v4
	v_lshlrev_b64_e32 v[18:19], 4, v[1:2]
	s_delay_alu instid0(VALU_DEP_3) | instskip(SKIP_1) | instid1(VALU_DEP_4)
	v_add_co_u32 v8, vcc_lo, s8, v16
	s_wait_alu 0xfffd
	v_add_co_ci_u32_e64 v9, null, s9, v17, vcc_lo
	v_add_co_u32 v16, s0, s16, v16
	s_delay_alu instid0(VALU_DEP_4)
	v_add_co_u32 v12, vcc_lo, s8, v18
	s_wait_alu 0xfffd
	v_add_co_ci_u32_e64 v13, null, s9, v19, vcc_lo
	s_clause 0x1
	global_load_b128 v[8:11], v[8:9], off
	global_load_b128 v[12:15], v[12:13], off
	v_cmp_eq_u32_e32 vcc_lo, 0, v7
	s_wait_alu 0xf1ff
	v_add_co_ci_u32_e64 v17, null, s17, v17, s0
	v_add_co_u32 v18, s0, s16, v18
	s_wait_alu 0xf1ff
	v_add_co_ci_u32_e64 v19, null, s17, v19, s0
	s_wait_alu 0xfffe
	s_or_b32 s22, vcc_lo, s22
	s_wait_loadcnt 0x1
	global_store_b128 v[16:17], v[8:11], off
	s_wait_loadcnt 0x0
	global_store_b128 v[18:19], v[12:15], off
	s_wait_alu 0xfffe
	s_and_not1_b32 exec_lo, exec_lo, s22
	s_cbranch_execnz .LBB15_116
; %bb.117:
	s_or_b32 exec_lo, exec_lo, s22
	v_cmp_ne_u32_e32 vcc_lo, v5, v6
	v_add_nc_u32_e32 v2, v0, v6
	s_or_not1_b32 s0, vcc_lo, exec_lo
.LBB15_118:
	s_wait_alu 0xfffe
	s_or_b32 exec_lo, exec_lo, s21
	s_delay_alu instid0(SALU_CYCLE_1)
	s_and_b32 exec_lo, exec_lo, s0
	s_cbranch_execz .LBB15_121
; %bb.119:
	v_mov_b32_e32 v3, 0
	s_add_nc_u64 s[12:13], s[12:13], s[14:15]
	s_delay_alu instid0(SALU_CYCLE_1) | instskip(NEXT) | instid1(VALU_DEP_1)
	s_add_nc_u64 s[10:11], s[10:11], s[12:13]
	v_lshlrev_b64_e32 v[4:5], 4, v[2:3]
	s_wait_alu 0xfffe
	s_delay_alu instid0(VALU_DEP_1) | instskip(SKIP_1) | instid1(VALU_DEP_2)
	v_add_co_u32 v1, vcc_lo, s10, v4
	s_wait_alu 0xfffd
	v_add_co_ci_u32_e64 v3, null, s11, v5, vcc_lo
	v_add_co_u32 v4, vcc_lo, s4, v4
	s_wait_alu 0xfffd
	v_add_co_ci_u32_e64 v5, null, s5, v5, vcc_lo
	s_mov_b32 s10, 0
	s_lshl_b32 s11, s28, 4
.LBB15_120:                             ; =>This Inner Loop Header: Depth=1
	v_add_co_u32 v6, vcc_lo, v4, s2
	s_wait_alu 0xfffd
	v_add_co_ci_u32_e64 v7, null, s3, v5, vcc_lo
	v_add_nc_u32_e32 v2, s28, v2
	v_add_co_u32 v10, vcc_lo, v1, s2
	global_load_b128 v[6:9], v[6:7], off
	s_wait_alu 0xfffd
	v_add_co_ci_u32_e64 v11, null, s3, v3, vcc_lo
	s_wait_alu 0xfffe
	v_add_co_u32 v1, vcc_lo, v1, s11
	s_wait_alu 0xfffd
	v_add_co_ci_u32_e64 v3, null, 0, v3, vcc_lo
	v_cmp_le_i32_e32 vcc_lo, s19, v2
	v_add_co_u32 v4, s0, v4, s11
	s_wait_alu 0xf1ff
	v_add_co_ci_u32_e64 v5, null, 0, v5, s0
	s_or_b32 s10, vcc_lo, s10
	s_wait_loadcnt 0x0
	global_store_b128 v[10:11], v[6:9], off
	s_wait_alu 0xfffe
	s_and_not1_b32 exec_lo, exec_lo, s10
	s_cbranch_execnz .LBB15_120
.LBB15_121:
	s_or_b32 exec_lo, exec_lo, s20
	v_lshl_add_u32 v1, s19, 3, v0
	s_mov_b32 s10, exec_lo
	s_delay_alu instid0(VALU_DEP_1)
	v_cmpx_gt_i32_e64 s18, v1
	s_cbranch_execz .LBB15_129
; %bb.122:
	v_add_nc_u32_e32 v2, 1, v1
	s_and_b32 s0, s28, 0xffff
	s_wait_alu 0xfffe
	s_cmp_eq_u32 s0, 1
	s_cselect_b32 s0, -1, 0
	v_max_i32_e32 v2, s18, v2
	s_delay_alu instid0(VALU_DEP_1) | instskip(NEXT) | instid1(VALU_DEP_1)
	v_sub_nc_u32_e32 v4, v2, v1
	v_cmp_lt_u32_e32 vcc_lo, 3, v4
	s_wait_alu 0xfffe
	s_and_b32 s12, vcc_lo, s0
	s_mov_b32 s0, -1
	s_and_saveexec_b32 s11, s12
	s_cbranch_execz .LBB15_126
; %bb.123:
	v_dual_mov_b32 v2, v1 :: v_dual_and_b32 v5, -4, v4
	s_mov_b32 s12, 0
	s_delay_alu instid0(VALU_DEP_1)
	v_mov_b32_e32 v6, v5
.LBB15_124:                             ; =>This Inner Loop Header: Depth=1
	s_delay_alu instid0(VALU_DEP_2) | instskip(NEXT) | instid1(VALU_DEP_2)
	v_ashrrev_i32_e32 v3, 31, v2
	v_add_nc_u32_e32 v6, -4, v6
	s_delay_alu instid0(VALU_DEP_2) | instskip(SKIP_1) | instid1(VALU_DEP_2)
	v_lshlrev_b64_e32 v[7:8], 1, v[2:3]
	v_add_nc_u32_e32 v2, 4, v2
	v_add_co_u32 v9, vcc_lo, s8, v7
	s_wait_alu 0xfffd
	s_delay_alu instid0(VALU_DEP_3)
	v_add_co_ci_u32_e64 v10, null, s9, v8, vcc_lo
	v_cmp_eq_u32_e32 vcc_lo, 0, v6
	v_add_co_u32 v7, s0, s16, v7
	global_load_b64 v[9:10], v[9:10], off
	s_wait_alu 0xf1fe
	v_add_co_ci_u32_e64 v8, null, s17, v8, s0
	s_or_b32 s12, vcc_lo, s12
	s_wait_loadcnt 0x0
	global_store_b64 v[7:8], v[9:10], off
	s_and_not1_b32 exec_lo, exec_lo, s12
	s_cbranch_execnz .LBB15_124
; %bb.125:
	s_or_b32 exec_lo, exec_lo, s12
	v_cmp_ne_u32_e32 vcc_lo, v4, v5
	v_add_nc_u32_e32 v1, v1, v5
	s_or_not1_b32 s0, vcc_lo, exec_lo
.LBB15_126:
	s_wait_alu 0xfffe
	s_or_b32 exec_lo, exec_lo, s11
	s_delay_alu instid0(SALU_CYCLE_1)
	s_and_b32 exec_lo, exec_lo, s0
	s_cbranch_execz .LBB15_129
; %bb.127:
	v_ashrrev_i32_e32 v2, 31, v1
	s_delay_alu instid0(VALU_DEP_1) | instskip(NEXT) | instid1(VALU_DEP_1)
	v_lshlrev_b64_e32 v[2:3], 1, v[1:2]
	v_add_co_u32 v2, vcc_lo, s2, v2
	s_wait_alu 0xfffd
	s_delay_alu instid0(VALU_DEP_2)
	v_add_co_ci_u32_e64 v3, null, s3, v3, vcc_lo
	s_lshl_b32 s2, s28, 1
	s_mov_b32 s3, 0
.LBB15_128:                             ; =>This Inner Loop Header: Depth=1
	v_add_co_u32 v4, vcc_lo, s4, v2
	s_wait_alu 0xfffd
	v_add_co_ci_u32_e64 v5, null, s5, v3, vcc_lo
	v_add_nc_u32_e32 v1, s28, v1
	global_load_u16 v6, v[4:5], off
	v_add_co_u32 v4, vcc_lo, s6, v2
	s_wait_alu 0xfffd
	v_add_co_ci_u32_e64 v5, null, s7, v3, vcc_lo
	v_cmp_le_i32_e32 vcc_lo, s18, v1
	s_wait_alu 0xfffe
	v_add_co_u32 v2, s0, v2, s2
	s_wait_alu 0xf1ff
	v_add_co_ci_u32_e64 v3, null, 0, v3, s0
	s_or_b32 s3, vcc_lo, s3
	s_wait_loadcnt 0x0
	global_store_b16 v[4:5], v6, off
	s_wait_alu 0xfffe
	s_and_not1_b32 exec_lo, exec_lo, s3
	s_cbranch_execnz .LBB15_128
.LBB15_129:
	s_wait_alu 0xfffe
	s_or_b32 exec_lo, exec_lo, s10
	s_mov_b32 s0, 0
.LBB15_130:
	s_wait_alu 0xfffe
	s_and_b32 vcc_lo, exec_lo, s0
	s_wait_alu 0xfffe
	s_cbranch_vccz .LBB15_139
; %bb.131:
	s_ashr_i32 s1, s1, 3
	s_mov_b32 s0, exec_lo
	s_wait_alu 0xfffe
	v_cmpx_gt_i32_e64 s1, v0
	s_cbranch_execz .LBB15_139
; %bb.132:
	v_add_nc_u32_e32 v1, 1, v0
	s_and_b32 s0, s28, 0xffff
	s_wait_alu 0xfffe
	s_cmp_eq_u32 s0, 1
	s_cselect_b32 s0, -1, 0
	v_max_i32_e32 v2, s1, v1
	s_delay_alu instid0(VALU_DEP_1) | instskip(NEXT) | instid1(VALU_DEP_1)
	v_sub_nc_u32_e32 v5, v2, v0
	v_cmp_lt_u32_e32 vcc_lo, 1, v5
	s_wait_alu 0xfffe
	s_and_b32 s3, vcc_lo, s0
	s_mov_b32 s0, -1
	s_wait_alu 0xfffe
	s_and_saveexec_b32 s2, s3
	s_cbranch_execz .LBB15_136
; %bb.133:
	v_and_b32_e32 v6, -2, v5
	v_dual_mov_b32 v4, v1 :: v_dual_mov_b32 v3, v0
	v_mov_b32_e32 v2, 0
	s_mov_b32 s3, 0
	s_delay_alu instid0(VALU_DEP_3)
	v_mov_b32_e32 v7, v6
.LBB15_134:                             ; =>This Inner Loop Header: Depth=1
	s_delay_alu instid0(VALU_DEP_3) | instskip(NEXT) | instid1(VALU_DEP_2)
	v_mov_b32_e32 v1, v3
	v_add_nc_u32_e32 v7, -2, v7
	v_add_nc_u32_e32 v3, 2, v3
	s_delay_alu instid0(VALU_DEP_3) | instskip(SKIP_1) | instid1(VALU_DEP_1)
	v_lshlrev_b64_e32 v[16:17], 4, v[1:2]
	v_dual_mov_b32 v1, v4 :: v_dual_add_nc_u32 v4, 2, v4
	v_lshlrev_b64_e32 v[18:19], 4, v[1:2]
	s_delay_alu instid0(VALU_DEP_3) | instskip(SKIP_1) | instid1(VALU_DEP_4)
	v_add_co_u32 v8, vcc_lo, s4, v16
	s_wait_alu 0xfffd
	v_add_co_ci_u32_e64 v9, null, s5, v17, vcc_lo
	v_add_co_u32 v16, s0, s6, v16
	s_delay_alu instid0(VALU_DEP_4)
	v_add_co_u32 v12, vcc_lo, s4, v18
	s_wait_alu 0xfffd
	v_add_co_ci_u32_e64 v13, null, s5, v19, vcc_lo
	s_clause 0x1
	global_load_b128 v[8:11], v[8:9], off
	global_load_b128 v[12:15], v[12:13], off
	v_cmp_eq_u32_e32 vcc_lo, 0, v7
	s_wait_alu 0xf1ff
	v_add_co_ci_u32_e64 v17, null, s7, v17, s0
	v_add_co_u32 v18, s0, s6, v18
	s_wait_alu 0xf1ff
	v_add_co_ci_u32_e64 v19, null, s7, v19, s0
	s_wait_alu 0xfffe
	s_or_b32 s3, vcc_lo, s3
	s_wait_loadcnt 0x1
	global_store_b128 v[16:17], v[8:11], off
	s_wait_loadcnt 0x0
	global_store_b128 v[18:19], v[12:15], off
	s_wait_alu 0xfffe
	s_and_not1_b32 exec_lo, exec_lo, s3
	s_cbranch_execnz .LBB15_134
; %bb.135:
	s_or_b32 exec_lo, exec_lo, s3
	v_cmp_ne_u32_e32 vcc_lo, v5, v6
	v_add_nc_u32_e32 v0, v0, v6
	s_or_not1_b32 s0, vcc_lo, exec_lo
.LBB15_136:
	s_wait_alu 0xfffe
	s_or_b32 exec_lo, exec_lo, s2
	s_delay_alu instid0(SALU_CYCLE_1)
	s_and_b32 exec_lo, exec_lo, s0
	s_cbranch_execz .LBB15_139
; %bb.137:
	v_mov_b32_e32 v1, 0
	s_mov_b32 s2, 0
	s_lshl_b32 s3, s28, 4
	s_delay_alu instid0(VALU_DEP_1)
	v_lshlrev_b64_e32 v[1:2], 4, v[0:1]
.LBB15_138:                             ; =>This Inner Loop Header: Depth=1
	s_delay_alu instid0(VALU_DEP_1) | instskip(SKIP_1) | instid1(VALU_DEP_2)
	v_add_co_u32 v3, vcc_lo, s4, v1
	s_wait_alu 0xfffd
	v_add_co_ci_u32_e64 v4, null, s5, v2, vcc_lo
	v_add_nc_u32_e32 v0, s28, v0
	v_add_co_u32 v7, vcc_lo, s6, v1
	global_load_b128 v[3:6], v[3:4], off
	s_wait_alu 0xfffd
	v_add_co_ci_u32_e64 v8, null, s7, v2, vcc_lo
	v_cmp_le_i32_e32 vcc_lo, s1, v0
	s_wait_alu 0xfffe
	v_add_co_u32 v1, s0, v1, s3
	s_wait_alu 0xf1ff
	v_add_co_ci_u32_e64 v2, null, 0, v2, s0
	s_or_b32 s2, vcc_lo, s2
	s_wait_loadcnt 0x0
	global_store_b128 v[7:8], v[3:6], off
	s_wait_alu 0xfffe
	s_and_not1_b32 exec_lo, exec_lo, s2
	s_cbranch_execnz .LBB15_138
.LBB15_139:
	s_endpgm
.LBB15_140:
                                        ; implicit-def: $sgpr26_sgpr27
	s_load_b256 s[4:11], s[0:1], 0x0
	s_branch .LBB15_3
	.section	.rodata,"a",@progbits
	.p2align	6, 0x0
	.amdhsa_kernel _ZN4vllm30reshape_and_cache_flash_kernelIttLNS_18Fp8KVCacheDataTypeE0EEEvPKT_S4_PT0_S6_PKlllllliiiPKfSA_
		.amdhsa_group_segment_fixed_size 0
		.amdhsa_private_segment_fixed_size 0
		.amdhsa_kernarg_size 368
		.amdhsa_user_sgpr_count 2
		.amdhsa_user_sgpr_dispatch_ptr 0
		.amdhsa_user_sgpr_queue_ptr 0
		.amdhsa_user_sgpr_kernarg_segment_ptr 1
		.amdhsa_user_sgpr_dispatch_id 0
		.amdhsa_user_sgpr_private_segment_size 0
		.amdhsa_wavefront_size32 1
		.amdhsa_uses_dynamic_stack 0
		.amdhsa_enable_private_segment 0
		.amdhsa_system_sgpr_workgroup_id_x 1
		.amdhsa_system_sgpr_workgroup_id_y 0
		.amdhsa_system_sgpr_workgroup_id_z 0
		.amdhsa_system_sgpr_workgroup_info 0
		.amdhsa_system_vgpr_workitem_id 0
		.amdhsa_next_free_vgpr 53
		.amdhsa_next_free_sgpr 38
		.amdhsa_reserve_vcc 1
		.amdhsa_float_round_mode_32 0
		.amdhsa_float_round_mode_16_64 0
		.amdhsa_float_denorm_mode_32 3
		.amdhsa_float_denorm_mode_16_64 3
		.amdhsa_fp16_overflow 0
		.amdhsa_workgroup_processor_mode 1
		.amdhsa_memory_ordered 1
		.amdhsa_forward_progress 1
		.amdhsa_inst_pref_size 72
		.amdhsa_round_robin_scheduling 0
		.amdhsa_exception_fp_ieee_invalid_op 0
		.amdhsa_exception_fp_denorm_src 0
		.amdhsa_exception_fp_ieee_div_zero 0
		.amdhsa_exception_fp_ieee_overflow 0
		.amdhsa_exception_fp_ieee_underflow 0
		.amdhsa_exception_fp_ieee_inexact 0
		.amdhsa_exception_int_div_zero 0
	.end_amdhsa_kernel
	.section	.text._ZN4vllm30reshape_and_cache_flash_kernelIttLNS_18Fp8KVCacheDataTypeE0EEEvPKT_S4_PT0_S6_PKlllllliiiPKfSA_,"axG",@progbits,_ZN4vllm30reshape_and_cache_flash_kernelIttLNS_18Fp8KVCacheDataTypeE0EEEvPKT_S4_PT0_S6_PKlllllliiiPKfSA_,comdat
.Lfunc_end15:
	.size	_ZN4vllm30reshape_and_cache_flash_kernelIttLNS_18Fp8KVCacheDataTypeE0EEEvPKT_S4_PT0_S6_PKlllllliiiPKfSA_, .Lfunc_end15-_ZN4vllm30reshape_and_cache_flash_kernelIttLNS_18Fp8KVCacheDataTypeE0EEEvPKT_S4_PT0_S6_PKlllllliiiPKfSA_
                                        ; -- End function
	.set _ZN4vllm30reshape_and_cache_flash_kernelIttLNS_18Fp8KVCacheDataTypeE0EEEvPKT_S4_PT0_S6_PKlllllliiiPKfSA_.num_vgpr, 53
	.set _ZN4vllm30reshape_and_cache_flash_kernelIttLNS_18Fp8KVCacheDataTypeE0EEEvPKT_S4_PT0_S6_PKlllllliiiPKfSA_.num_agpr, 0
	.set _ZN4vllm30reshape_and_cache_flash_kernelIttLNS_18Fp8KVCacheDataTypeE0EEEvPKT_S4_PT0_S6_PKlllllliiiPKfSA_.numbered_sgpr, 38
	.set _ZN4vllm30reshape_and_cache_flash_kernelIttLNS_18Fp8KVCacheDataTypeE0EEEvPKT_S4_PT0_S6_PKlllllliiiPKfSA_.num_named_barrier, 0
	.set _ZN4vllm30reshape_and_cache_flash_kernelIttLNS_18Fp8KVCacheDataTypeE0EEEvPKT_S4_PT0_S6_PKlllllliiiPKfSA_.private_seg_size, 0
	.set _ZN4vllm30reshape_and_cache_flash_kernelIttLNS_18Fp8KVCacheDataTypeE0EEEvPKT_S4_PT0_S6_PKlllllliiiPKfSA_.uses_vcc, 1
	.set _ZN4vllm30reshape_and_cache_flash_kernelIttLNS_18Fp8KVCacheDataTypeE0EEEvPKT_S4_PT0_S6_PKlllllliiiPKfSA_.uses_flat_scratch, 0
	.set _ZN4vllm30reshape_and_cache_flash_kernelIttLNS_18Fp8KVCacheDataTypeE0EEEvPKT_S4_PT0_S6_PKlllllliiiPKfSA_.has_dyn_sized_stack, 0
	.set _ZN4vllm30reshape_and_cache_flash_kernelIttLNS_18Fp8KVCacheDataTypeE0EEEvPKT_S4_PT0_S6_PKlllllliiiPKfSA_.has_recursion, 0
	.set _ZN4vllm30reshape_and_cache_flash_kernelIttLNS_18Fp8KVCacheDataTypeE0EEEvPKT_S4_PT0_S6_PKlllllliiiPKfSA_.has_indirect_call, 0
	.section	.AMDGPU.csdata,"",@progbits
; Kernel info:
; codeLenInByte = 9104
; TotalNumSgprs: 40
; NumVgprs: 53
; ScratchSize: 0
; MemoryBound: 0
; FloatMode: 240
; IeeeMode: 1
; LDSByteSize: 0 bytes/workgroup (compile time only)
; SGPRBlocks: 0
; VGPRBlocks: 6
; NumSGPRsForWavesPerEU: 40
; NumVGPRsForWavesPerEU: 53
; Occupancy: 16
; WaveLimiterHint : 1
; COMPUTE_PGM_RSRC2:SCRATCH_EN: 0
; COMPUTE_PGM_RSRC2:USER_SGPR: 2
; COMPUTE_PGM_RSRC2:TRAP_HANDLER: 0
; COMPUTE_PGM_RSRC2:TGID_X_EN: 1
; COMPUTE_PGM_RSRC2:TGID_Y_EN: 0
; COMPUTE_PGM_RSRC2:TGID_Z_EN: 0
; COMPUTE_PGM_RSRC2:TIDIG_COMP_CNT: 0
	.section	.text._ZN4vllm30reshape_and_cache_flash_kernelI14__hip_bfloat16S1_LNS_18Fp8KVCacheDataTypeE0EEEvPKT_S5_PT0_S7_PKlllllliiiPKfSB_,"axG",@progbits,_ZN4vllm30reshape_and_cache_flash_kernelI14__hip_bfloat16S1_LNS_18Fp8KVCacheDataTypeE0EEEvPKT_S5_PT0_S7_PKlllllliiiPKfSB_,comdat
	.protected	_ZN4vllm30reshape_and_cache_flash_kernelI14__hip_bfloat16S1_LNS_18Fp8KVCacheDataTypeE0EEEvPKT_S5_PT0_S7_PKlllllliiiPKfSB_ ; -- Begin function _ZN4vllm30reshape_and_cache_flash_kernelI14__hip_bfloat16S1_LNS_18Fp8KVCacheDataTypeE0EEEvPKT_S5_PT0_S7_PKlllllliiiPKfSB_
	.globl	_ZN4vllm30reshape_and_cache_flash_kernelI14__hip_bfloat16S1_LNS_18Fp8KVCacheDataTypeE0EEEvPKT_S5_PT0_S7_PKlllllliiiPKfSB_
	.p2align	8
	.type	_ZN4vllm30reshape_and_cache_flash_kernelI14__hip_bfloat16S1_LNS_18Fp8KVCacheDataTypeE0EEEvPKT_S5_PT0_S7_PKlllllliiiPKfSB_,@function
_ZN4vllm30reshape_and_cache_flash_kernelI14__hip_bfloat16S1_LNS_18Fp8KVCacheDataTypeE0EEEvPKT_S5_PT0_S7_PKlllllliiiPKfSB_: ; @_ZN4vllm30reshape_and_cache_flash_kernelI14__hip_bfloat16S1_LNS_18Fp8KVCacheDataTypeE0EEEvPKT_S5_PT0_S7_PKlllllliiiPKfSB_
; %bb.0:
	s_load_b64 s[4:5], s[0:1], 0x20
	s_mov_b32 s2, ttmp9
	s_mov_b32 s3, 0
	s_delay_alu instid0(SALU_CYCLE_1)
	s_lshl_b64 s[6:7], s[2:3], 3
	s_wait_kmcnt 0x0
	s_add_nc_u64 s[4:5], s[4:5], s[6:7]
	s_load_b64 s[24:25], s[4:5], 0x0
	s_wait_kmcnt 0x0
	v_cmp_lt_i64_e64 s4, s[24:25], 0
	s_and_b32 vcc_lo, exec_lo, s4
	s_cbranch_vccnz .LBB16_139
; %bb.1:
	s_load_b96 s[20:22], s[0:1], 0x50
	s_wait_kmcnt 0x0
	s_ashr_i32 s23, s22, 31
	s_delay_alu instid0(SALU_CYCLE_1) | instskip(SKIP_1) | instid1(SALU_CYCLE_1)
	s_or_b64 s[4:5], s[24:25], s[22:23]
	s_mov_b32 s4, s3
	s_cmp_lg_u64 s[4:5], 0
	s_cbranch_scc0 .LBB16_140
; %bb.2:
	s_ashr_i32 s4, s23, 31
	s_mov_b32 s13, 0
	s_mov_b32 s5, s4
	s_delay_alu instid0(SALU_CYCLE_1) | instskip(NEXT) | instid1(SALU_CYCLE_1)
	s_add_nc_u64 s[6:7], s[22:23], s[4:5]
	s_xor_b64 s[6:7], s[6:7], s[4:5]
	s_delay_alu instid0(SALU_CYCLE_1) | instskip(SKIP_2) | instid1(SALU_CYCLE_2)
	s_cvt_f32_u32 s8, s6
	s_cvt_f32_u32 s9, s7
	s_sub_nc_u64 s[10:11], 0, s[6:7]
	s_fmamk_f32 s8, s9, 0x4f800000, s8
	s_delay_alu instid0(SALU_CYCLE_3) | instskip(NEXT) | instid1(TRANS32_DEP_1)
	v_s_rcp_f32 s8, s8
	s_mul_f32 s8, s8, 0x5f7ffffc
	s_wait_alu 0xfffe
	s_delay_alu instid0(SALU_CYCLE_2) | instskip(SKIP_1) | instid1(SALU_CYCLE_2)
	s_mul_f32 s9, s8, 0x2f800000
	s_wait_alu 0xfffe
	s_trunc_f32 s9, s9
	s_wait_alu 0xfffe
	s_delay_alu instid0(SALU_CYCLE_2) | instskip(SKIP_2) | instid1(SALU_CYCLE_1)
	s_fmamk_f32 s8, s9, 0xcf800000, s8
	s_cvt_u32_f32 s9, s9
	s_wait_alu 0xfffe
	s_cvt_u32_f32 s8, s8
	s_wait_alu 0xfffe
	s_delay_alu instid0(SALU_CYCLE_2) | instskip(NEXT) | instid1(SALU_CYCLE_1)
	s_mul_u64 s[14:15], s[10:11], s[8:9]
	s_mul_hi_u32 s17, s8, s15
	s_mul_i32 s16, s8, s15
	s_mul_hi_u32 s12, s8, s14
	s_mul_i32 s19, s9, s14
	s_add_nc_u64 s[16:17], s[12:13], s[16:17]
	s_mul_hi_u32 s18, s9, s14
	s_mul_hi_u32 s26, s9, s15
	s_add_co_u32 s12, s16, s19
	s_add_co_ci_u32 s12, s17, s18
	s_mul_i32 s14, s9, s15
	s_add_co_ci_u32 s15, s26, 0
	s_delay_alu instid0(SALU_CYCLE_1) | instskip(NEXT) | instid1(SALU_CYCLE_1)
	s_add_nc_u64 s[14:15], s[12:13], s[14:15]
	s_add_co_u32 s8, s8, s14
	s_cselect_b32 s12, -1, 0
	s_delay_alu instid0(SALU_CYCLE_1) | instskip(SKIP_3) | instid1(SALU_CYCLE_1)
	s_cmp_lg_u32 s12, 0
	s_add_co_ci_u32 s9, s9, s15
	s_wait_alu 0xfffe
	s_mul_u64 s[10:11], s[10:11], s[8:9]
	s_mul_hi_u32 s15, s8, s11
	s_mul_i32 s14, s8, s11
	s_mul_hi_u32 s12, s8, s10
	s_mul_i32 s17, s9, s10
	s_add_nc_u64 s[14:15], s[12:13], s[14:15]
	s_mul_hi_u32 s16, s9, s10
	s_mul_hi_u32 s18, s9, s11
	s_mul_i32 s10, s9, s11
	s_add_co_u32 s11, s14, s17
	s_add_co_ci_u32 s12, s15, s16
	s_add_co_ci_u32 s11, s18, 0
	s_delay_alu instid0(SALU_CYCLE_1) | instskip(NEXT) | instid1(SALU_CYCLE_1)
	s_add_nc_u64 s[10:11], s[12:13], s[10:11]
	s_add_co_u32 s16, s8, s10
	s_cselect_b32 s8, -1, 0
	s_wait_alu 0xfffe
	s_cmp_lg_u32 s8, 0
	s_add_co_ci_u32 s17, s9, s11
	s_ashr_i32 s8, s25, 31
	s_wait_alu 0xfffe
	s_mov_b32 s9, s8
	s_wait_alu 0xfffe
	s_add_nc_u64 s[10:11], s[24:25], s[8:9]
	s_delay_alu instid0(SALU_CYCLE_1) | instskip(NEXT) | instid1(SALU_CYCLE_1)
	s_xor_b64 s[10:11], s[10:11], s[8:9]
	s_mul_hi_u32 s15, s10, s17
	s_mul_i32 s14, s10, s17
	s_mul_hi_u32 s12, s10, s16
	s_mul_i32 s26, s11, s16
	s_add_nc_u64 s[14:15], s[12:13], s[14:15]
	s_mul_hi_u32 s19, s11, s16
	s_mul_hi_u32 s18, s11, s17
	s_add_co_u32 s12, s14, s26
	s_add_co_ci_u32 s12, s15, s19
	s_mul_i32 s16, s11, s17
	s_add_co_ci_u32 s17, s18, 0
	s_delay_alu instid0(SALU_CYCLE_1) | instskip(NEXT) | instid1(SALU_CYCLE_1)
	s_add_nc_u64 s[14:15], s[12:13], s[16:17]
	s_mul_u64 s[16:17], s[6:7], s[14:15]
	s_delay_alu instid0(SALU_CYCLE_1)
	s_sub_co_u32 s10, s10, s16
	s_cselect_b32 s12, -1, 0
	s_sub_co_i32 s16, s11, s17
	s_cmp_lg_u32 s12, 0
	s_sub_co_ci_u32 s16, s16, s7
	s_sub_co_u32 s18, s10, s6
	s_cselect_b32 s19, -1, 0
	s_delay_alu instid0(SALU_CYCLE_1) | instskip(SKIP_1) | instid1(SALU_CYCLE_1)
	s_cmp_lg_u32 s19, 0
	s_sub_co_ci_u32 s16, s16, 0
	s_cmp_ge_u32 s16, s7
	s_cselect_b32 s26, -1, 0
	s_cmp_ge_u32 s18, s6
	s_add_nc_u64 s[18:19], s[14:15], 1
	s_cselect_b32 s27, -1, 0
	s_cmp_eq_u32 s16, s7
	s_cselect_b32 s16, s27, s26
	s_add_nc_u64 s[26:27], s[14:15], 2
	s_cmp_lg_u32 s16, 0
	s_cselect_b32 s16, s26, s18
	s_cselect_b32 s18, s27, s19
	s_cmp_lg_u32 s12, 0
	s_sub_co_ci_u32 s11, s11, s17
	s_delay_alu instid0(SALU_CYCLE_1)
	s_cmp_ge_u32 s11, s7
	s_cselect_b32 s12, -1, 0
	s_cmp_ge_u32 s10, s6
	s_cselect_b32 s6, -1, 0
	s_cmp_eq_u32 s11, s7
	s_cselect_b32 s6, s6, s12
	s_delay_alu instid0(SALU_CYCLE_1) | instskip(SKIP_3) | instid1(SALU_CYCLE_1)
	s_cmp_lg_u32 s6, 0
	s_cselect_b32 s7, s18, s15
	s_cselect_b32 s6, s16, s14
	s_xor_b64 s[4:5], s[8:9], s[4:5]
	s_xor_b64 s[6:7], s[6:7], s[4:5]
	s_delay_alu instid0(SALU_CYCLE_1)
	s_sub_nc_u64 s[26:27], s[6:7], s[4:5]
	s_load_b256 s[4:11], s[0:1], 0x0
	s_cbranch_execnz .LBB16_4
.LBB16_3:
	v_cvt_f32_u32_e32 v1, s22
	s_sub_co_i32 s13, 0, s22
	s_mov_b32 s27, 0
	s_delay_alu instid0(VALU_DEP_1) | instskip(NEXT) | instid1(TRANS32_DEP_1)
	v_rcp_iflag_f32_e32 v1, v1
	v_mul_f32_e32 v1, 0x4f7ffffe, v1
	s_delay_alu instid0(VALU_DEP_1) | instskip(NEXT) | instid1(VALU_DEP_1)
	v_cvt_u32_f32_e32 v1, v1
	v_readfirstlane_b32 s12, v1
	s_mul_i32 s13, s13, s12
	s_delay_alu instid0(SALU_CYCLE_1) | instskip(NEXT) | instid1(SALU_CYCLE_1)
	s_mul_hi_u32 s13, s12, s13
	s_add_co_i32 s12, s12, s13
	s_delay_alu instid0(SALU_CYCLE_1) | instskip(NEXT) | instid1(SALU_CYCLE_1)
	s_mul_hi_u32 s12, s24, s12
	s_mul_i32 s13, s12, s22
	s_add_co_i32 s14, s12, 1
	s_sub_co_i32 s13, s24, s13
	s_delay_alu instid0(SALU_CYCLE_1)
	s_sub_co_i32 s15, s13, s22
	s_cmp_ge_u32 s13, s22
	s_cselect_b32 s12, s14, s12
	s_cselect_b32 s13, s15, s13
	s_add_co_i32 s14, s12, 1
	s_cmp_ge_u32 s13, s22
	s_cselect_b32 s26, s14, s12
.LBB16_4:
	s_clause 0x2
	s_load_b256 s[12:19], s[0:1], 0x28
	s_load_b64 s[28:29], s[0:1], 0x48
	s_load_b32 s30, s[0:1], 0x7c
	s_mul_u64 s[0:1], s[26:27], s[22:23]
	s_ashr_i32 s23, s21, 31
	s_sub_nc_u64 s[0:1], s[24:25], s[0:1]
	s_mov_b32 s22, s21
	s_wait_kmcnt 0x0
	s_mul_u64 s[18:19], s[18:19], s[2:3]
	s_mul_u64 s[2:3], s[28:29], s[2:3]
	;; [unrolled: 1-line block ×4, first 2 shown]
	s_lshl_b64 s[18:19], s[18:19], 1
	s_lshl_b64 s[2:3], s[2:3], 1
	;; [unrolled: 1-line block ×4, first 2 shown]
	s_add_nc_u64 s[18:19], s[4:5], s[18:19]
	s_add_nc_u64 s[4:5], s[6:7], s[2:3]
	;; [unrolled: 1-line block ×4, first 2 shown]
	s_and_b32 s28, s30, 0xffff
	s_wait_alu 0xfffe
	s_cmp_lg_u64 s[16:17], s[22:23]
	s_add_nc_u64 s[22:23], s[0:1], s[14:15]
	s_add_nc_u64 s[6:7], s[2:3], s[14:15]
	s_mov_b32 s0, -1
	s_cbranch_scc0 .LBB16_77
; %bb.5:
	v_lshrrev_b32_e32 v28, 5, v0
	s_mov_b32 s29, exec_lo
	s_delay_alu instid0(VALU_DEP_1)
	v_cmpx_gt_i32_e64 s20, v28
	s_cbranch_execz .LBB16_76
; %bb.6:
	v_mad_co_u64_u32 v[6:7], null, s16, v28, 0
	v_and_b32_e32 v1, 31, v0
	s_and_b32 s0, s21, 7
	s_lshr_b32 s24, s28, 5
	s_cmp_eq_u32 s0, 0
	s_add_nc_u64 s[2:3], s[14:15], s[12:13]
	s_cselect_b32 s33, -1, 0
	s_delay_alu instid0(VALU_DEP_2)
	v_mov_b32_e32 v2, v7
	v_not_b32_e32 v29, v1
	s_ashr_i32 s30, s21, 3
	v_mul_lo_u32 v5, s21, v28
	s_mov_b32 s25, 0
	v_mad_co_u64_u32 v[2:3], null, s17, v28, v[2:3]
	v_dual_mov_b32 v4, 0 :: v_dual_add_nc_u32 v9, s30, v29
	v_or_b32_e32 v8, 32, v1
	v_lshlrev_b32_e32 v31, 1, v1
	s_wait_alu 0xfffe
	s_mul_u64 s[26:27], s[16:17], s[24:25]
	v_lshrrev_b32_e32 v3, 5, v9
	v_cmp_lt_u32_e64 s0, 31, v9
	s_lshl_b64 s[26:27], s[26:27], 1
	s_mul_i32 s31, s21, s24
	s_xor_b32 s33, s33, -1
	v_add_nc_u32_e32 v3, 1, v3
	v_dual_mov_b32 v7, v2 :: v_dual_mov_b32 v2, v4
	v_cmp_gt_i32_e32 vcc_lo, s30, v1
	s_delay_alu instid0(VALU_DEP_3) | instskip(NEXT) | instid1(VALU_DEP_3)
	v_and_b32_e32 v30, 0xffffffe, v3
	v_lshlrev_b64_e32 v[10:11], 1, v[6:7]
	v_mov_b32_e32 v7, v1
	s_delay_alu instid0(VALU_DEP_3) | instskip(NEXT) | instid1(VALU_DEP_3)
	v_lshl_or_b32 v9, v30, 5, v1
	v_add_co_u32 v6, s1, s2, v10
	s_delay_alu instid0(VALU_DEP_1) | instskip(SKIP_1) | instid1(VALU_DEP_3)
	v_add_co_ci_u32_e64 v10, null, s3, v11, s1
	v_cmp_ne_u32_e64 s1, v3, v30
	v_add_co_u32 v11, s2, s8, v6
	s_wait_alu 0xf1ff
	s_delay_alu instid0(VALU_DEP_3)
	v_add_co_ci_u32_e64 v12, null, s9, v10, s2
	v_add_co_u32 v13, s2, s10, v6
	s_wait_alu 0xf1ff
	v_add_co_ci_u32_e64 v14, null, s11, v10, s2
	s_branch .LBB16_9
.LBB16_7:                               ;   in Loop: Header=BB16_9 Depth=1
	s_or_b32 exec_lo, exec_lo, s35
.LBB16_8:                               ;   in Loop: Header=BB16_9 Depth=1
	s_delay_alu instid0(SALU_CYCLE_1) | instskip(SKIP_4) | instid1(VALU_DEP_3)
	s_or_b32 exec_lo, exec_lo, s34
	v_add_nc_u32_e32 v28, s24, v28
	v_add_co_u32 v11, s2, v11, s26
	s_wait_alu 0xf1ff
	v_add_co_ci_u32_e64 v12, null, s27, v12, s2
	v_cmp_le_i32_e64 s2, s20, v28
	v_add_co_u32 v13, s3, v13, s26
	v_add_nc_u32_e32 v5, s31, v5
	s_wait_alu 0xf1ff
	v_add_co_ci_u32_e64 v14, null, s27, v14, s3
	s_or_b32 s25, s2, s25
	s_wait_alu 0xfffe
	s_and_not1_b32 exec_lo, exec_lo, s25
	s_cbranch_execz .LBB16_76
.LBB16_9:                               ; =>This Loop Header: Depth=1
                                        ;     Child Loop BB16_15 Depth 2
                                        ;     Child Loop BB16_21 Depth 2
	;; [unrolled: 1-line block ×12, first 2 shown]
	v_mul_lo_u32 v15, v28, s21
	v_mad_co_u64_u32 v[19:20], null, s16, v28, 0
	v_ashrrev_i32_e32 v6, 31, v5
	s_delay_alu instid0(VALU_DEP_3) | instskip(NEXT) | instid1(VALU_DEP_3)
	v_ashrrev_i32_e32 v16, 31, v15
	v_mov_b32_e32 v3, v20
	s_delay_alu instid0(VALU_DEP_2) | instskip(NEXT) | instid1(VALU_DEP_2)
	v_lshlrev_b64_e32 v[17:18], 1, v[15:16]
	v_mad_co_u64_u32 v[20:21], null, s17, v28, v[3:4]
	v_lshlrev_b64_e32 v[15:16], 1, v[5:6]
	s_delay_alu instid0(VALU_DEP_3) | instskip(SKIP_1) | instid1(VALU_DEP_4)
	v_add_co_u32 v10, s2, s18, v17
	s_wait_alu 0xf1ff
	v_add_co_ci_u32_e64 v25, null, s19, v18, s2
	s_delay_alu instid0(VALU_DEP_4) | instskip(NEXT) | instid1(VALU_DEP_3)
	v_lshlrev_b64_e32 v[19:20], 1, v[19:20]
	v_and_b32_e32 v3, 15, v10
	v_add_co_u32 v21, s2, s18, v15
	s_wait_alu 0xf1ff
	v_add_co_ci_u32_e64 v22, null, s19, v16, s2
	s_delay_alu instid0(VALU_DEP_3)
	v_cmp_ne_u64_e64 s2, 0, v[3:4]
	v_add_co_u32 v26, s3, s22, v19
	s_wait_alu 0xf1ff
	v_add_co_ci_u32_e64 v34, null, s23, v20, s3
	s_or_b32 s2, s33, s2
	s_wait_alu 0xfffe
	s_and_saveexec_b32 s3, s2
	s_wait_alu 0xfffe
	s_xor_b32 s34, exec_lo, s3
	s_cbranch_execz .LBB16_31
; %bb.10:                               ;   in Loop: Header=BB16_9 Depth=1
	v_sub_nc_u32_e32 v3, 0, v10
	s_mov_b32 s3, exec_lo
	s_delay_alu instid0(VALU_DEP_1) | instskip(NEXT) | instid1(VALU_DEP_1)
	v_bfe_u32 v3, v3, 1, 3
	v_min_i32_e32 v23, s21, v3
	s_delay_alu instid0(VALU_DEP_1)
	v_cmpx_lt_i32_e64 v1, v23
	s_cbranch_execz .LBB16_12
; %bb.11:                               ;   in Loop: Header=BB16_9 Depth=1
	v_add_co_u32 v32, s2, v10, v31
	s_wait_alu 0xf1ff
	v_add_co_ci_u32_e64 v33, null, 0, v25, s2
	global_load_u16 v3, v[32:33], off
	v_add_co_u32 v32, s2, v26, v31
	s_wait_alu 0xf1ff
	v_add_co_ci_u32_e64 v33, null, 0, v34, s2
	s_wait_loadcnt 0x0
	global_store_b16 v[32:33], v3, off
.LBB16_12:                              ;   in Loop: Header=BB16_9 Depth=1
	s_wait_alu 0xfffe
	s_or_b32 exec_lo, exec_lo, s3
	v_sub_nc_u32_e32 v6, s21, v23
	v_ashrrev_i32_e32 v24, 31, v23
	s_mov_b32 s35, exec_lo
	s_delay_alu instid0(VALU_DEP_2) | instskip(NEXT) | instid1(VALU_DEP_2)
	v_ashrrev_i32_e32 v3, 31, v6
	v_lshlrev_b64_e32 v[23:24], 1, v[23:24]
	s_delay_alu instid0(VALU_DEP_2) | instskip(NEXT) | instid1(VALU_DEP_2)
	v_lshrrev_b32_e32 v3, 29, v3
	v_add_co_u32 v10, s2, v10, v23
	s_wait_alu 0xf1ff
	s_delay_alu instid0(VALU_DEP_3) | instskip(NEXT) | instid1(VALU_DEP_3)
	v_add_co_ci_u32_e64 v32, null, v25, v24, s2
	v_add_nc_u32_e32 v3, v6, v3
	v_add_co_u32 v33, s2, v26, v23
	s_wait_alu 0xf1ff
	v_add_co_ci_u32_e64 v34, null, v34, v24, s2
	s_delay_alu instid0(VALU_DEP_3) | instskip(NEXT) | instid1(VALU_DEP_1)
	v_ashrrev_i32_e32 v27, 3, v3
	v_cmpx_lt_i32_e64 v1, v27
	s_cbranch_execz .LBB16_22
; %bb.13:                               ;   in Loop: Header=BB16_9 Depth=1
	v_dual_mov_b32 v26, v2 :: v_dual_add_nc_u32 v35, v27, v29
	v_mov_b32_e32 v3, v1
	v_mov_b32_e32 v25, v1
	s_mov_b32 s3, -1
	s_mov_b32 s36, exec_lo
	v_cmpx_lt_u32_e32 31, v35
	s_cbranch_execz .LBB16_19
; %bb.14:                               ;   in Loop: Header=BB16_9 Depth=1
	v_lshrrev_b32_e32 v3, 5, v35
	s_mov_b32 s37, 0
	v_dual_mov_b32 v26, v8 :: v_dual_mov_b32 v25, v7
	s_delay_alu instid0(VALU_DEP_2) | instskip(NEXT) | instid1(VALU_DEP_1)
	v_add_nc_u32_e32 v36, 1, v3
	v_and_b32_e32 v35, 0xffffffe, v36
	s_delay_alu instid0(VALU_DEP_1)
	v_mov_b32_e32 v37, v35
.LBB16_15:                              ;   Parent Loop BB16_9 Depth=1
                                        ; =>  This Inner Loop Header: Depth=2
	s_delay_alu instid0(VALU_DEP_4) | instskip(NEXT) | instid1(VALU_DEP_2)
	v_mov_b32_e32 v3, v25
	v_add_nc_u32_e32 v37, -2, v37
	v_add_nc_u32_e32 v25, 64, v25
	s_delay_alu instid0(VALU_DEP_3) | instskip(SKIP_1) | instid1(VALU_DEP_1)
	v_lshlrev_b64_e32 v[46:47], 4, v[3:4]
	v_dual_mov_b32 v3, v26 :: v_dual_add_nc_u32 v26, 64, v26
	v_lshlrev_b64_e32 v[48:49], 4, v[3:4]
	s_delay_alu instid0(VALU_DEP_3) | instskip(SKIP_1) | instid1(VALU_DEP_4)
	v_add_co_u32 v38, s2, v10, v46
	s_wait_alu 0xf1ff
	v_add_co_ci_u32_e64 v39, null, v32, v47, s2
	v_add_co_u32 v46, s3, v33, v46
	s_delay_alu instid0(VALU_DEP_4)
	v_add_co_u32 v42, s2, v10, v48
	s_wait_alu 0xf1ff
	v_add_co_ci_u32_e64 v43, null, v32, v49, s2
	s_clause 0x1
	global_load_b128 v[38:41], v[38:39], off
	global_load_b128 v[42:45], v[42:43], off
	v_cmp_eq_u32_e64 s2, 0, v37
	s_wait_alu 0xfffe
	v_add_co_ci_u32_e64 v47, null, v34, v47, s3
	v_add_co_u32 v48, s3, v33, v48
	s_wait_alu 0xf1ff
	v_add_co_ci_u32_e64 v49, null, v34, v49, s3
	s_or_b32 s37, s2, s37
	s_wait_loadcnt 0x1
	global_store_b128 v[46:47], v[38:41], off
	s_wait_loadcnt 0x0
	global_store_b128 v[48:49], v[42:45], off
	s_and_not1_b32 exec_lo, exec_lo, s37
	s_cbranch_execnz .LBB16_15
; %bb.16:                               ;   in Loop: Header=BB16_9 Depth=1
	s_or_b32 exec_lo, exec_lo, s37
	s_mov_b32 s3, 0
	s_mov_b32 s37, exec_lo
                                        ; implicit-def: $vgpr25_vgpr26
	v_cmpx_ne_u32_e64 v36, v35
; %bb.17:                               ;   in Loop: Header=BB16_9 Depth=1
	v_lshl_or_b32 v3, v35, 5, v1
	v_mov_b32_e32 v26, v4
	s_mov_b32 s3, exec_lo
	s_delay_alu instid0(VALU_DEP_2)
	v_mov_b32_e32 v25, v3
; %bb.18:                               ;   in Loop: Header=BB16_9 Depth=1
	s_or_b32 exec_lo, exec_lo, s37
	s_wait_alu 0xfffe
	s_or_not1_b32 s3, s3, exec_lo
.LBB16_19:                              ;   in Loop: Header=BB16_9 Depth=1
	s_or_b32 exec_lo, exec_lo, s36
	s_wait_alu 0xfffe
	s_and_b32 exec_lo, exec_lo, s3
	s_cbranch_execz .LBB16_22
; %bb.20:                               ;   in Loop: Header=BB16_9 Depth=1
	v_lshlrev_b64_e32 v[25:26], 4, v[25:26]
	s_mov_b32 s36, 0
	s_delay_alu instid0(VALU_DEP_1) | instskip(SKIP_1) | instid1(VALU_DEP_2)
	v_add_co_u32 v35, s2, v25, v15
	s_wait_alu 0xf1ff
	v_add_co_ci_u32_e64 v36, null, v26, v16, s2
	v_add_co_u32 v25, s2, v11, v25
	s_wait_alu 0xf1ff
	v_add_co_ci_u32_e64 v26, null, v12, v26, s2
	;; [unrolled: 3-line block ×3, first 2 shown]
.LBB16_21:                              ;   Parent Loop BB16_9 Depth=1
                                        ; =>  This Inner Loop Header: Depth=2
	s_delay_alu instid0(VALU_DEP_2) | instskip(SKIP_1) | instid1(VALU_DEP_2)
	v_add_co_u32 v37, s2, v35, v23
	s_wait_alu 0xf1ff
	v_add_co_ci_u32_e64 v38, null, v36, v24, s2
	v_add_nc_u32_e32 v3, 32, v3
	v_add_co_u32 v41, s2, v25, v23
	global_load_b128 v[37:40], v[37:38], off
	s_wait_alu 0xf1ff
	v_add_co_ci_u32_e64 v42, null, v26, v24, s2
	v_add_co_u32 v25, s2, 0x200, v25
	s_wait_alu 0xf1ff
	v_add_co_ci_u32_e64 v26, null, 0, v26, s2
	v_cmp_ge_i32_e64 s2, v3, v27
	v_add_co_u32 v35, s3, 0x200, v35
	s_wait_alu 0xf1ff
	v_add_co_ci_u32_e64 v36, null, 0, v36, s3
	s_or_b32 s36, s2, s36
	s_wait_loadcnt 0x0
	global_store_b128 v[41:42], v[37:40], off
	s_and_not1_b32 exec_lo, exec_lo, s36
	s_cbranch_execnz .LBB16_21
.LBB16_22:                              ;   in Loop: Header=BB16_9 Depth=1
	s_or_b32 exec_lo, exec_lo, s35
	v_lshlrev_b32_e32 v3, 3, v27
	s_mov_b32 s35, exec_lo
	s_delay_alu instid0(VALU_DEP_1) | instskip(NEXT) | instid1(VALU_DEP_1)
	v_add_nc_u32_e32 v25, v3, v1
	v_cmpx_lt_i32_e64 v25, v6
	s_cbranch_execz .LBB16_30
; %bb.23:                               ;   in Loop: Header=BB16_9 Depth=1
	v_add_nc_u32_e32 v26, v8, v3
	s_mov_b32 s3, -1
	s_mov_b32 s36, exec_lo
	s_delay_alu instid0(VALU_DEP_1) | instskip(NEXT) | instid1(VALU_DEP_1)
	v_max_i32_e32 v26, v26, v6
	v_add_nc_u32_e32 v26, v26, v29
	s_delay_alu instid0(VALU_DEP_1) | instskip(NEXT) | instid1(VALU_DEP_1)
	v_sub_nc_u32_e32 v3, v26, v3
	v_cmpx_lt_u32_e32 0x5f, v3
	s_cbranch_execz .LBB16_27
; %bb.24:                               ;   in Loop: Header=BB16_9 Depth=1
	v_lshrrev_b32_e32 v3, 5, v3
	v_add_nc_u32_e32 v26, 32, v25
	s_mov_b32 s37, 0
	s_delay_alu instid0(VALU_DEP_2) | instskip(NEXT) | instid1(VALU_DEP_2)
	v_add_nc_u32_e32 v3, 1, v3
	v_mov_b32_e32 v27, v26
	s_delay_alu instid0(VALU_DEP_2) | instskip(NEXT) | instid1(VALU_DEP_1)
	v_dual_mov_b32 v26, v25 :: v_dual_and_b32 v35, 0xffffffc, v3
	v_mov_b32_e32 v36, v35
.LBB16_25:                              ;   Parent Loop BB16_9 Depth=1
                                        ; =>  This Inner Loop Header: Depth=2
	s_delay_alu instid0(VALU_DEP_2) | instskip(SKIP_1) | instid1(VALU_DEP_3)
	v_add_nc_u32_e32 v37, 64, v26
	v_ashrrev_i32_e32 v42, 31, v26
	v_dual_mov_b32 v41, v26 :: v_dual_add_nc_u32 v36, -4, v36
	v_add_nc_u32_e32 v39, 64, v27
	v_ashrrev_i32_e32 v44, 31, v27
	v_dual_mov_b32 v43, v27 :: v_dual_add_nc_u32 v26, 0x80, v26
	v_ashrrev_i32_e32 v38, 31, v37
	v_lshlrev_b64_e32 v[41:42], 1, v[41:42]
	v_ashrrev_i32_e32 v40, 31, v39
	s_delay_alu instid0(VALU_DEP_4) | instskip(SKIP_2) | instid1(VALU_DEP_4)
	v_lshlrev_b64_e32 v[43:44], 1, v[43:44]
	v_add_nc_u32_e32 v27, 0x80, v27
	v_lshlrev_b64_e32 v[37:38], 1, v[37:38]
	v_lshlrev_b64_e32 v[39:40], 1, v[39:40]
	v_add_co_u32 v45, s2, v10, v41
	s_wait_alu 0xf1ff
	v_add_co_ci_u32_e64 v46, null, v32, v42, s2
	v_add_co_u32 v47, s2, v10, v43
	s_wait_alu 0xf1ff
	v_add_co_ci_u32_e64 v48, null, v32, v44, s2
	;; [unrolled: 3-line block ×4, first 2 shown]
	s_clause 0x3
	global_load_u16 v45, v[45:46], off
	global_load_u16 v46, v[47:48], off
	;; [unrolled: 1-line block ×4, first 2 shown]
	v_add_co_u32 v41, s3, v33, v41
	s_wait_alu 0xf1fe
	v_add_co_ci_u32_e64 v42, null, v34, v42, s3
	v_add_co_u32 v43, s3, v33, v43
	v_cmp_eq_u32_e64 s2, 0, v36
	s_wait_alu 0xf1ff
	v_add_co_ci_u32_e64 v44, null, v34, v44, s3
	v_add_co_u32 v37, s3, v33, v37
	s_wait_alu 0xf1ff
	v_add_co_ci_u32_e64 v38, null, v34, v38, s3
	v_add_co_u32 v39, s3, v33, v39
	s_wait_alu 0xf1ff
	v_add_co_ci_u32_e64 v40, null, v34, v40, s3
	s_or_b32 s37, s2, s37
	s_wait_loadcnt 0x3
	global_store_b16 v[41:42], v45, off
	s_wait_loadcnt 0x2
	global_store_b16 v[43:44], v46, off
	;; [unrolled: 2-line block ×4, first 2 shown]
	s_and_not1_b32 exec_lo, exec_lo, s37
	s_cbranch_execnz .LBB16_25
; %bb.26:                               ;   in Loop: Header=BB16_9 Depth=1
	s_or_b32 exec_lo, exec_lo, s37
	v_cmp_ne_u32_e64 s2, v3, v35
	v_lshl_add_u32 v25, v35, 5, v25
	s_or_not1_b32 s3, s2, exec_lo
.LBB16_27:                              ;   in Loop: Header=BB16_9 Depth=1
	s_or_b32 exec_lo, exec_lo, s36
	s_wait_alu 0xfffe
	s_and_b32 exec_lo, exec_lo, s3
	s_cbranch_execz .LBB16_30
; %bb.28:                               ;   in Loop: Header=BB16_9 Depth=1
	v_ashrrev_i32_e32 v26, 31, v25
	s_mov_b32 s36, 0
	s_delay_alu instid0(VALU_DEP_1) | instskip(NEXT) | instid1(VALU_DEP_1)
	v_lshlrev_b64_e32 v[26:27], 1, v[25:26]
	v_add_co_u32 v3, s2, v23, v26
	s_wait_alu 0xf1ff
	s_delay_alu instid0(VALU_DEP_2)
	v_add_co_ci_u32_e64 v10, null, v24, v27, s2
.LBB16_29:                              ;   Parent Loop BB16_9 Depth=1
                                        ; =>  This Inner Loop Header: Depth=2
	s_delay_alu instid0(VALU_DEP_2) | instskip(SKIP_1) | instid1(VALU_DEP_2)
	v_add_co_u32 v23, s2, v21, v3
	s_wait_alu 0xf1ff
	v_add_co_ci_u32_e64 v24, null, v22, v10, s2
	v_add_nc_u32_e32 v25, 32, v25
	global_load_u16 v26, v[23:24], off
	v_add_co_u32 v23, s2, v11, v3
	s_wait_alu 0xf1ff
	v_add_co_ci_u32_e64 v24, null, v12, v10, s2
	v_cmp_ge_i32_e64 s2, v25, v6
	v_add_co_u32 v3, s3, v3, 64
	s_wait_alu 0xf1ff
	v_add_co_ci_u32_e64 v10, null, 0, v10, s3
	s_or_b32 s36, s2, s36
	s_wait_loadcnt 0x0
	global_store_b16 v[23:24], v26, off
	s_and_not1_b32 exec_lo, exec_lo, s36
	s_cbranch_execnz .LBB16_29
.LBB16_30:                              ;   in Loop: Header=BB16_9 Depth=1
	s_or_b32 exec_lo, exec_lo, s35
                                        ; implicit-def: $vgpr21_vgpr22
                                        ; implicit-def: $vgpr10
                                        ; implicit-def: $vgpr25
                                        ; implicit-def: $vgpr26
                                        ; implicit-def: $vgpr34
.LBB16_31:                              ;   in Loop: Header=BB16_9 Depth=1
	s_and_not1_saveexec_b32 s34, s34
	s_cbranch_execz .LBB16_43
; %bb.32:                               ;   in Loop: Header=BB16_9 Depth=1
	s_and_saveexec_b32 s35, vcc_lo
	s_cbranch_execz .LBB16_42
; %bb.33:                               ;   in Loop: Header=BB16_9 Depth=1
	v_dual_mov_b32 v3, v1 :: v_dual_mov_b32 v24, v2
	v_mov_b32_e32 v23, v1
	s_mov_b32 s2, -1
	s_and_saveexec_b32 s36, s0
	s_cbranch_execz .LBB16_39
; %bb.34:                               ;   in Loop: Header=BB16_9 Depth=1
	v_mov_b32_e32 v24, v8
	v_dual_mov_b32 v6, v30 :: v_dual_mov_b32 v23, v7
	s_mov_b32 s37, 0
.LBB16_35:                              ;   Parent Loop BB16_9 Depth=1
                                        ; =>  This Inner Loop Header: Depth=2
	s_delay_alu instid0(VALU_DEP_1) | instskip(SKIP_1) | instid1(VALU_DEP_2)
	v_dual_mov_b32 v3, v23 :: v_dual_add_nc_u32 v6, -2, v6
	v_add_nc_u32_e32 v23, 64, v23
	v_lshlrev_b64_e32 v[32:33], 4, v[3:4]
	v_dual_mov_b32 v3, v24 :: v_dual_add_nc_u32 v24, 64, v24
	s_delay_alu instid0(VALU_DEP_1) | instskip(NEXT) | instid1(VALU_DEP_3)
	v_lshlrev_b64_e32 v[43:44], 4, v[3:4]
	v_add_co_u32 v35, s2, v10, v32
	s_wait_alu 0xf1fe
	s_delay_alu instid0(VALU_DEP_4) | instskip(SKIP_1) | instid1(VALU_DEP_4)
	v_add_co_ci_u32_e64 v36, null, v25, v33, s2
	v_add_co_u32 v32, s3, v26, v32
	v_add_co_u32 v39, s2, v10, v43
	s_wait_alu 0xf1ff
	v_add_co_ci_u32_e64 v40, null, v25, v44, s2
	s_clause 0x1
	global_load_b128 v[35:38], v[35:36], off
	global_load_b128 v[39:42], v[39:40], off
	v_cmp_eq_u32_e64 s2, 0, v6
	v_add_co_ci_u32_e64 v33, null, v34, v33, s3
	v_add_co_u32 v43, s3, v26, v43
	s_wait_alu 0xf1ff
	v_add_co_ci_u32_e64 v44, null, v34, v44, s3
	s_or_b32 s37, s2, s37
	s_wait_loadcnt 0x1
	global_store_b128 v[32:33], v[35:38], off
	s_wait_loadcnt 0x0
	global_store_b128 v[43:44], v[39:42], off
	s_and_not1_b32 exec_lo, exec_lo, s37
	s_cbranch_execnz .LBB16_35
; %bb.36:                               ;   in Loop: Header=BB16_9 Depth=1
	s_or_b32 exec_lo, exec_lo, s37
	s_mov_b32 s2, 0
                                        ; implicit-def: $vgpr23_vgpr24
	s_and_saveexec_b32 s3, s1
; %bb.37:                               ;   in Loop: Header=BB16_9 Depth=1
	v_mov_b32_e32 v10, v4
	s_mov_b32 s2, exec_lo
	s_delay_alu instid0(VALU_DEP_1)
	v_dual_mov_b32 v24, v10 :: v_dual_mov_b32 v23, v9
; %bb.38:                               ;   in Loop: Header=BB16_9 Depth=1
	s_wait_alu 0xfffe
	s_or_b32 exec_lo, exec_lo, s3
	v_mov_b32_e32 v3, v9
	s_or_not1_b32 s2, s2, exec_lo
.LBB16_39:                              ;   in Loop: Header=BB16_9 Depth=1
	s_or_b32 exec_lo, exec_lo, s36
	s_wait_alu 0xfffe
	s_and_b32 exec_lo, exec_lo, s2
	s_cbranch_execz .LBB16_42
; %bb.40:                               ;   in Loop: Header=BB16_9 Depth=1
	v_lshlrev_b64_e32 v[23:24], 4, v[23:24]
	v_dual_mov_b32 v26, v12 :: v_dual_mov_b32 v25, v11
	s_mov_b32 s36, 0
.LBB16_41:                              ;   Parent Loop BB16_9 Depth=1
                                        ; =>  This Inner Loop Header: Depth=2
	s_delay_alu instid0(VALU_DEP_2) | instskip(SKIP_1) | instid1(VALU_DEP_3)
	v_add_co_u32 v32, s2, v21, v23
	s_wait_alu 0xf1ff
	v_add_co_ci_u32_e64 v33, null, v22, v24, s2
	v_add_nc_u32_e32 v3, 32, v3
	v_add_co_u32 v36, s2, v25, v23
	global_load_b128 v[32:35], v[32:33], off
	s_wait_alu 0xf1ff
	v_add_co_ci_u32_e64 v37, null, v26, v24, s2
	v_add_co_u32 v25, s2, 0x200, v25
	s_wait_alu 0xf1ff
	v_add_co_ci_u32_e64 v26, null, 0, v26, s2
	v_cmp_le_i32_e64 s2, s30, v3
	v_add_co_u32 v21, s3, 0x200, v21
	s_wait_alu 0xf1ff
	v_add_co_ci_u32_e64 v22, null, 0, v22, s3
	s_or_b32 s36, s2, s36
	s_wait_loadcnt 0x0
	global_store_b128 v[36:37], v[32:35], off
	s_and_not1_b32 exec_lo, exec_lo, s36
	s_cbranch_execnz .LBB16_41
.LBB16_42:                              ;   in Loop: Header=BB16_9 Depth=1
	s_or_b32 exec_lo, exec_lo, s35
.LBB16_43:                              ;   in Loop: Header=BB16_9 Depth=1
	s_delay_alu instid0(SALU_CYCLE_1) | instskip(SKIP_4) | instid1(VALU_DEP_3)
	s_or_b32 exec_lo, exec_lo, s34
	v_add_co_u32 v10, s2, s4, v17
	s_wait_alu 0xf1ff
	v_add_co_ci_u32_e64 v21, null, s5, v18, s2
	v_add_co_u32 v17, s2, s4, v15
	v_and_b32_e32 v3, 15, v10
	s_wait_alu 0xf1ff
	v_add_co_ci_u32_e64 v18, null, s5, v16, s2
	v_add_co_u32 v22, s3, s6, v19
	s_delay_alu instid0(VALU_DEP_3)
	v_cmp_ne_u64_e64 s2, 0, v[3:4]
	s_wait_alu 0xf1ff
	v_add_co_ci_u32_e64 v25, null, s7, v20, s3
	s_or_b32 s2, s33, s2
	s_wait_alu 0xfffe
	s_and_saveexec_b32 s3, s2
	s_wait_alu 0xfffe
	s_xor_b32 s34, exec_lo, s3
	s_cbranch_execz .LBB16_65
; %bb.44:                               ;   in Loop: Header=BB16_9 Depth=1
	v_sub_nc_u32_e32 v3, 0, v10
	s_mov_b32 s3, exec_lo
	s_delay_alu instid0(VALU_DEP_1) | instskip(NEXT) | instid1(VALU_DEP_1)
	v_bfe_u32 v3, v3, 1, 3
	v_min_i32_e32 v19, s21, v3
	s_delay_alu instid0(VALU_DEP_1)
	v_cmpx_lt_i32_e64 v1, v19
	s_cbranch_execz .LBB16_46
; %bb.45:                               ;   in Loop: Header=BB16_9 Depth=1
	v_add_co_u32 v23, s2, v10, v31
	s_wait_alu 0xf1ff
	v_add_co_ci_u32_e64 v24, null, 0, v21, s2
	global_load_u16 v3, v[23:24], off
	v_add_co_u32 v23, s2, v22, v31
	s_wait_alu 0xf1ff
	v_add_co_ci_u32_e64 v24, null, 0, v25, s2
	s_wait_loadcnt 0x0
	global_store_b16 v[23:24], v3, off
.LBB16_46:                              ;   in Loop: Header=BB16_9 Depth=1
	s_wait_alu 0xfffe
	s_or_b32 exec_lo, exec_lo, s3
	v_sub_nc_u32_e32 v6, s21, v19
	v_ashrrev_i32_e32 v20, 31, v19
	s_mov_b32 s35, exec_lo
	s_delay_alu instid0(VALU_DEP_2) | instskip(NEXT) | instid1(VALU_DEP_2)
	v_ashrrev_i32_e32 v3, 31, v6
	v_lshlrev_b64_e32 v[19:20], 1, v[19:20]
	s_delay_alu instid0(VALU_DEP_2) | instskip(NEXT) | instid1(VALU_DEP_2)
	v_lshrrev_b32_e32 v3, 29, v3
	v_add_co_u32 v10, s2, v10, v19
	s_wait_alu 0xf1ff
	s_delay_alu instid0(VALU_DEP_3) | instskip(NEXT) | instid1(VALU_DEP_3)
	v_add_co_ci_u32_e64 v23, null, v21, v20, s2
	v_add_nc_u32_e32 v3, v6, v3
	v_add_co_u32 v24, s2, v22, v19
	s_wait_alu 0xf1ff
	v_add_co_ci_u32_e64 v25, null, v25, v20, s2
	s_delay_alu instid0(VALU_DEP_3) | instskip(NEXT) | instid1(VALU_DEP_1)
	v_ashrrev_i32_e32 v26, 3, v3
	v_cmpx_lt_i32_e64 v1, v26
	s_cbranch_execz .LBB16_56
; %bb.47:                               ;   in Loop: Header=BB16_9 Depth=1
	v_dual_mov_b32 v3, v1 :: v_dual_mov_b32 v22, v2
	v_add_nc_u32_e32 v27, v26, v29
	v_mov_b32_e32 v21, v1
	s_mov_b32 s3, -1
	s_mov_b32 s36, exec_lo
	s_delay_alu instid0(VALU_DEP_2)
	v_cmpx_lt_u32_e32 31, v27
	s_cbranch_execz .LBB16_53
; %bb.48:                               ;   in Loop: Header=BB16_9 Depth=1
	v_lshrrev_b32_e32 v3, 5, v27
	s_mov_b32 s37, 0
	v_dual_mov_b32 v22, v8 :: v_dual_mov_b32 v21, v7
	s_delay_alu instid0(VALU_DEP_2) | instskip(NEXT) | instid1(VALU_DEP_1)
	v_add_nc_u32_e32 v32, 1, v3
	v_and_b32_e32 v27, 0xffffffe, v32
	s_delay_alu instid0(VALU_DEP_1)
	v_mov_b32_e32 v33, v27
.LBB16_49:                              ;   Parent Loop BB16_9 Depth=1
                                        ; =>  This Inner Loop Header: Depth=2
	s_delay_alu instid0(VALU_DEP_4) | instskip(NEXT) | instid1(VALU_DEP_2)
	v_mov_b32_e32 v3, v21
	v_add_nc_u32_e32 v33, -2, v33
	v_add_nc_u32_e32 v21, 64, v21
	s_delay_alu instid0(VALU_DEP_3) | instskip(SKIP_1) | instid1(VALU_DEP_1)
	v_lshlrev_b64_e32 v[42:43], 4, v[3:4]
	v_dual_mov_b32 v3, v22 :: v_dual_add_nc_u32 v22, 64, v22
	v_lshlrev_b64_e32 v[44:45], 4, v[3:4]
	s_delay_alu instid0(VALU_DEP_3) | instskip(SKIP_1) | instid1(VALU_DEP_4)
	v_add_co_u32 v34, s2, v10, v42
	s_wait_alu 0xf1ff
	v_add_co_ci_u32_e64 v35, null, v23, v43, s2
	v_add_co_u32 v42, s3, v24, v42
	s_delay_alu instid0(VALU_DEP_4)
	v_add_co_u32 v38, s2, v10, v44
	s_wait_alu 0xf1ff
	v_add_co_ci_u32_e64 v39, null, v23, v45, s2
	s_clause 0x1
	global_load_b128 v[34:37], v[34:35], off
	global_load_b128 v[38:41], v[38:39], off
	v_cmp_eq_u32_e64 s2, 0, v33
	s_wait_alu 0xfffe
	v_add_co_ci_u32_e64 v43, null, v25, v43, s3
	v_add_co_u32 v44, s3, v24, v44
	s_wait_alu 0xf1ff
	v_add_co_ci_u32_e64 v45, null, v25, v45, s3
	s_or_b32 s37, s2, s37
	s_wait_loadcnt 0x1
	global_store_b128 v[42:43], v[34:37], off
	s_wait_loadcnt 0x0
	global_store_b128 v[44:45], v[38:41], off
	s_and_not1_b32 exec_lo, exec_lo, s37
	s_cbranch_execnz .LBB16_49
; %bb.50:                               ;   in Loop: Header=BB16_9 Depth=1
	s_or_b32 exec_lo, exec_lo, s37
	s_mov_b32 s3, 0
	s_mov_b32 s37, exec_lo
                                        ; implicit-def: $vgpr21_vgpr22
	v_cmpx_ne_u32_e64 v32, v27
; %bb.51:                               ;   in Loop: Header=BB16_9 Depth=1
	v_lshl_or_b32 v3, v27, 5, v1
	v_mov_b32_e32 v22, v4
	s_mov_b32 s3, exec_lo
	s_delay_alu instid0(VALU_DEP_2)
	v_mov_b32_e32 v21, v3
; %bb.52:                               ;   in Loop: Header=BB16_9 Depth=1
	s_or_b32 exec_lo, exec_lo, s37
	s_wait_alu 0xfffe
	s_or_not1_b32 s3, s3, exec_lo
.LBB16_53:                              ;   in Loop: Header=BB16_9 Depth=1
	s_or_b32 exec_lo, exec_lo, s36
	s_wait_alu 0xfffe
	s_and_b32 exec_lo, exec_lo, s3
	s_cbranch_execz .LBB16_56
; %bb.54:                               ;   in Loop: Header=BB16_9 Depth=1
	v_lshlrev_b64_e32 v[21:22], 4, v[21:22]
	s_mov_b32 s36, 0
	s_delay_alu instid0(VALU_DEP_1) | instskip(SKIP_1) | instid1(VALU_DEP_2)
	v_add_co_u32 v27, s2, v21, v15
	s_wait_alu 0xf1ff
	v_add_co_ci_u32_e64 v32, null, v22, v16, s2
	v_add_co_u32 v15, s2, v13, v21
	s_wait_alu 0xf1ff
	v_add_co_ci_u32_e64 v16, null, v14, v22, s2
	;; [unrolled: 3-line block ×3, first 2 shown]
.LBB16_55:                              ;   Parent Loop BB16_9 Depth=1
                                        ; =>  This Inner Loop Header: Depth=2
	s_delay_alu instid0(VALU_DEP_2) | instskip(SKIP_1) | instid1(VALU_DEP_2)
	v_add_co_u32 v32, s2, v21, v19
	s_wait_alu 0xf1ff
	v_add_co_ci_u32_e64 v33, null, v22, v20, s2
	v_add_nc_u32_e32 v3, 32, v3
	v_add_co_u32 v36, s2, v15, v19
	global_load_b128 v[32:35], v[32:33], off
	s_wait_alu 0xf1ff
	v_add_co_ci_u32_e64 v37, null, v16, v20, s2
	v_add_co_u32 v15, s2, 0x200, v15
	s_wait_alu 0xf1ff
	v_add_co_ci_u32_e64 v16, null, 0, v16, s2
	v_cmp_ge_i32_e64 s2, v3, v26
	v_add_co_u32 v21, s3, 0x200, v21
	s_wait_alu 0xf1ff
	v_add_co_ci_u32_e64 v22, null, 0, v22, s3
	s_or_b32 s36, s2, s36
	s_wait_loadcnt 0x0
	global_store_b128 v[36:37], v[32:35], off
	s_and_not1_b32 exec_lo, exec_lo, s36
	s_cbranch_execnz .LBB16_55
.LBB16_56:                              ;   in Loop: Header=BB16_9 Depth=1
	s_or_b32 exec_lo, exec_lo, s35
	v_lshlrev_b32_e32 v3, 3, v26
	s_mov_b32 s35, exec_lo
	s_delay_alu instid0(VALU_DEP_1) | instskip(NEXT) | instid1(VALU_DEP_1)
	v_add_nc_u32_e32 v15, v3, v1
	v_cmpx_lt_i32_e64 v15, v6
	s_cbranch_execz .LBB16_64
; %bb.57:                               ;   in Loop: Header=BB16_9 Depth=1
	v_add_nc_u32_e32 v16, v8, v3
	s_mov_b32 s3, -1
	s_mov_b32 s36, exec_lo
	s_delay_alu instid0(VALU_DEP_1) | instskip(NEXT) | instid1(VALU_DEP_1)
	v_max_i32_e32 v16, v16, v6
	v_add_nc_u32_e32 v16, v16, v29
	s_delay_alu instid0(VALU_DEP_1) | instskip(NEXT) | instid1(VALU_DEP_1)
	v_sub_nc_u32_e32 v3, v16, v3
	v_cmpx_lt_u32_e32 0x5f, v3
	s_cbranch_execz .LBB16_61
; %bb.58:                               ;   in Loop: Header=BB16_9 Depth=1
	v_lshrrev_b32_e32 v3, 5, v3
	v_add_nc_u32_e32 v16, 32, v15
	s_mov_b32 s37, 0
	s_delay_alu instid0(VALU_DEP_1) | instskip(NEXT) | instid1(VALU_DEP_1)
	v_dual_mov_b32 v22, v16 :: v_dual_add_nc_u32 v3, 1, v3
	v_dual_mov_b32 v21, v15 :: v_dual_and_b32 v26, 0xffffffc, v3
	s_delay_alu instid0(VALU_DEP_1)
	v_mov_b32_e32 v27, v26
.LBB16_59:                              ;   Parent Loop BB16_9 Depth=1
                                        ; =>  This Inner Loop Header: Depth=2
	s_delay_alu instid0(VALU_DEP_2) | instskip(SKIP_1) | instid1(VALU_DEP_3)
	v_add_nc_u32_e32 v32, 64, v21
	v_ashrrev_i32_e32 v37, 31, v21
	v_dual_mov_b32 v36, v21 :: v_dual_add_nc_u32 v27, -4, v27
	v_add_nc_u32_e32 v34, 64, v22
	v_ashrrev_i32_e32 v39, 31, v22
	v_dual_mov_b32 v38, v22 :: v_dual_add_nc_u32 v21, 0x80, v21
	v_ashrrev_i32_e32 v33, 31, v32
	v_lshlrev_b64_e32 v[36:37], 1, v[36:37]
	v_ashrrev_i32_e32 v35, 31, v34
	s_delay_alu instid0(VALU_DEP_4) | instskip(SKIP_2) | instid1(VALU_DEP_4)
	v_lshlrev_b64_e32 v[38:39], 1, v[38:39]
	v_add_nc_u32_e32 v22, 0x80, v22
	v_lshlrev_b64_e32 v[32:33], 1, v[32:33]
	v_lshlrev_b64_e32 v[34:35], 1, v[34:35]
	v_add_co_u32 v40, s2, v10, v36
	s_wait_alu 0xf1ff
	v_add_co_ci_u32_e64 v41, null, v23, v37, s2
	v_add_co_u32 v42, s2, v10, v38
	s_wait_alu 0xf1ff
	v_add_co_ci_u32_e64 v43, null, v23, v39, s2
	v_add_co_u32 v44, s2, v10, v32
	s_wait_alu 0xf1ff
	v_add_co_ci_u32_e64 v45, null, v23, v33, s2
	v_add_co_u32 v46, s2, v10, v34
	s_wait_alu 0xf1ff
	v_add_co_ci_u32_e64 v47, null, v23, v35, s2
	s_clause 0x3
	global_load_u16 v16, v[40:41], off
	global_load_u16 v40, v[42:43], off
	;; [unrolled: 1-line block ×4, first 2 shown]
	v_add_co_u32 v36, s3, v24, v36
	s_wait_alu 0xf1fe
	v_add_co_ci_u32_e64 v37, null, v25, v37, s3
	v_add_co_u32 v38, s3, v24, v38
	v_cmp_eq_u32_e64 s2, 0, v27
	s_wait_alu 0xf1ff
	v_add_co_ci_u32_e64 v39, null, v25, v39, s3
	v_add_co_u32 v32, s3, v24, v32
	s_wait_alu 0xf1ff
	v_add_co_ci_u32_e64 v33, null, v25, v33, s3
	v_add_co_u32 v34, s3, v24, v34
	s_wait_alu 0xf1ff
	v_add_co_ci_u32_e64 v35, null, v25, v35, s3
	s_or_b32 s37, s2, s37
	s_wait_loadcnt 0x3
	global_store_b16 v[36:37], v16, off
	s_wait_loadcnt 0x2
	global_store_b16 v[38:39], v40, off
	;; [unrolled: 2-line block ×4, first 2 shown]
	s_and_not1_b32 exec_lo, exec_lo, s37
	s_cbranch_execnz .LBB16_59
; %bb.60:                               ;   in Loop: Header=BB16_9 Depth=1
	s_or_b32 exec_lo, exec_lo, s37
	v_cmp_ne_u32_e64 s2, v3, v26
	v_lshl_add_u32 v15, v26, 5, v15
	s_or_not1_b32 s3, s2, exec_lo
.LBB16_61:                              ;   in Loop: Header=BB16_9 Depth=1
	s_or_b32 exec_lo, exec_lo, s36
	s_wait_alu 0xfffe
	s_and_b32 exec_lo, exec_lo, s3
	s_cbranch_execz .LBB16_64
; %bb.62:                               ;   in Loop: Header=BB16_9 Depth=1
	v_ashrrev_i32_e32 v16, 31, v15
	s_mov_b32 s36, 0
	s_delay_alu instid0(VALU_DEP_1) | instskip(NEXT) | instid1(VALU_DEP_1)
	v_lshlrev_b64_e32 v[21:22], 1, v[15:16]
	v_add_co_u32 v3, s2, v19, v21
	s_wait_alu 0xf1ff
	s_delay_alu instid0(VALU_DEP_2)
	v_add_co_ci_u32_e64 v10, null, v20, v22, s2
.LBB16_63:                              ;   Parent Loop BB16_9 Depth=1
                                        ; =>  This Inner Loop Header: Depth=2
	s_delay_alu instid0(VALU_DEP_2) | instskip(SKIP_1) | instid1(VALU_DEP_2)
	v_add_co_u32 v19, s2, v17, v3
	s_wait_alu 0xf1ff
	v_add_co_ci_u32_e64 v20, null, v18, v10, s2
	v_add_nc_u32_e32 v15, 32, v15
	global_load_u16 v16, v[19:20], off
	v_add_co_u32 v19, s2, v13, v3
	s_wait_alu 0xf1ff
	v_add_co_ci_u32_e64 v20, null, v14, v10, s2
	v_cmp_ge_i32_e64 s2, v15, v6
	v_add_co_u32 v3, s3, v3, 64
	s_wait_alu 0xf1ff
	v_add_co_ci_u32_e64 v10, null, 0, v10, s3
	s_or_b32 s36, s2, s36
	s_wait_loadcnt 0x0
	global_store_b16 v[19:20], v16, off
	s_and_not1_b32 exec_lo, exec_lo, s36
	s_cbranch_execnz .LBB16_63
.LBB16_64:                              ;   in Loop: Header=BB16_9 Depth=1
	s_or_b32 exec_lo, exec_lo, s35
                                        ; implicit-def: $vgpr17_vgpr18
                                        ; implicit-def: $vgpr10
                                        ; implicit-def: $vgpr21
                                        ; implicit-def: $vgpr22
                                        ; implicit-def: $vgpr25
.LBB16_65:                              ;   in Loop: Header=BB16_9 Depth=1
	s_and_not1_saveexec_b32 s34, s34
	s_cbranch_execz .LBB16_8
; %bb.66:                               ;   in Loop: Header=BB16_9 Depth=1
	s_and_saveexec_b32 s35, vcc_lo
	s_cbranch_execz .LBB16_7
; %bb.67:                               ;   in Loop: Header=BB16_9 Depth=1
	v_dual_mov_b32 v3, v1 :: v_dual_mov_b32 v16, v2
	v_mov_b32_e32 v15, v1
	s_mov_b32 s2, -1
	s_and_saveexec_b32 s36, s0
	s_cbranch_execz .LBB16_73
; %bb.68:                               ;   in Loop: Header=BB16_9 Depth=1
	v_mov_b32_e32 v16, v8
	v_dual_mov_b32 v6, v30 :: v_dual_mov_b32 v15, v7
	s_mov_b32 s37, 0
.LBB16_69:                              ;   Parent Loop BB16_9 Depth=1
                                        ; =>  This Inner Loop Header: Depth=2
	s_delay_alu instid0(VALU_DEP_1) | instskip(SKIP_1) | instid1(VALU_DEP_2)
	v_dual_mov_b32 v3, v15 :: v_dual_add_nc_u32 v6, -2, v6
	v_add_nc_u32_e32 v15, 64, v15
	v_lshlrev_b64_e32 v[19:20], 4, v[3:4]
	v_dual_mov_b32 v3, v16 :: v_dual_add_nc_u32 v16, 64, v16
	s_delay_alu instid0(VALU_DEP_1) | instskip(NEXT) | instid1(VALU_DEP_3)
	v_lshlrev_b64_e32 v[23:24], 4, v[3:4]
	v_add_co_u32 v26, s2, v10, v19
	s_wait_alu 0xf1fe
	s_delay_alu instid0(VALU_DEP_4) | instskip(SKIP_1) | instid1(VALU_DEP_4)
	v_add_co_ci_u32_e64 v27, null, v21, v20, s2
	v_add_co_u32 v19, s3, v22, v19
	v_add_co_u32 v36, s2, v10, v23
	s_wait_alu 0xf1ff
	v_add_co_ci_u32_e64 v37, null, v21, v24, s2
	s_clause 0x1
	global_load_b128 v[32:35], v[26:27], off
	global_load_b128 v[36:39], v[36:37], off
	v_cmp_eq_u32_e64 s2, 0, v6
	v_add_co_ci_u32_e64 v20, null, v25, v20, s3
	v_add_co_u32 v23, s3, v22, v23
	s_wait_alu 0xf1ff
	v_add_co_ci_u32_e64 v24, null, v25, v24, s3
	s_or_b32 s37, s2, s37
	s_wait_loadcnt 0x1
	global_store_b128 v[19:20], v[32:35], off
	s_wait_loadcnt 0x0
	global_store_b128 v[23:24], v[36:39], off
	s_and_not1_b32 exec_lo, exec_lo, s37
	s_cbranch_execnz .LBB16_69
; %bb.70:                               ;   in Loop: Header=BB16_9 Depth=1
	s_or_b32 exec_lo, exec_lo, s37
	s_mov_b32 s2, 0
                                        ; implicit-def: $vgpr15_vgpr16
	s_and_saveexec_b32 s3, s1
; %bb.71:                               ;   in Loop: Header=BB16_9 Depth=1
	v_mov_b32_e32 v10, v4
	s_mov_b32 s2, exec_lo
	s_delay_alu instid0(VALU_DEP_1)
	v_dual_mov_b32 v16, v10 :: v_dual_mov_b32 v15, v9
; %bb.72:                               ;   in Loop: Header=BB16_9 Depth=1
	s_wait_alu 0xfffe
	s_or_b32 exec_lo, exec_lo, s3
	v_mov_b32_e32 v3, v9
	s_or_not1_b32 s2, s2, exec_lo
.LBB16_73:                              ;   in Loop: Header=BB16_9 Depth=1
	s_or_b32 exec_lo, exec_lo, s36
	s_wait_alu 0xfffe
	s_and_b32 exec_lo, exec_lo, s2
	s_cbranch_execz .LBB16_7
; %bb.74:                               ;   in Loop: Header=BB16_9 Depth=1
	v_lshlrev_b64_e32 v[15:16], 4, v[15:16]
	v_dual_mov_b32 v20, v14 :: v_dual_mov_b32 v19, v13
	s_mov_b32 s36, 0
.LBB16_75:                              ;   Parent Loop BB16_9 Depth=1
                                        ; =>  This Inner Loop Header: Depth=2
	s_delay_alu instid0(VALU_DEP_2) | instskip(SKIP_1) | instid1(VALU_DEP_3)
	v_add_co_u32 v21, s2, v17, v15
	s_wait_alu 0xf1ff
	v_add_co_ci_u32_e64 v22, null, v18, v16, s2
	v_add_nc_u32_e32 v3, 32, v3
	v_add_co_u32 v25, s2, v19, v15
	global_load_b128 v[21:24], v[21:22], off
	s_wait_alu 0xf1ff
	v_add_co_ci_u32_e64 v26, null, v20, v16, s2
	v_add_co_u32 v19, s2, 0x200, v19
	s_wait_alu 0xf1ff
	v_add_co_ci_u32_e64 v20, null, 0, v20, s2
	v_cmp_le_i32_e64 s2, s30, v3
	v_add_co_u32 v17, s3, 0x200, v17
	s_wait_alu 0xf1ff
	v_add_co_ci_u32_e64 v18, null, 0, v18, s3
	s_or_b32 s36, s2, s36
	s_wait_loadcnt 0x0
	global_store_b128 v[25:26], v[21:24], off
	s_and_not1_b32 exec_lo, exec_lo, s36
	s_cbranch_execnz .LBB16_75
	s_branch .LBB16_7
.LBB16_76:
	s_or_b32 exec_lo, exec_lo, s29
	s_mov_b32 s0, 0
.LBB16_77:
	s_wait_alu 0xfffe
	s_and_not1_b32 vcc_lo, exec_lo, s0
	s_cbranch_vccnz .LBB16_139
; %bb.78:
	s_and_b32 s0, s18, 15
	s_mov_b32 s1, 0
	s_wait_alu 0xfffe
	s_cmp_lg_u64 s[0:1], 0
	s_mul_i32 s1, s21, s20
	s_cselect_b32 s0, -1, 0
	s_wait_alu 0xfffe
	s_and_b32 s2, s1, 7
	s_wait_alu 0xfffe
	s_cmp_eq_u32 s2, 0
	s_cselect_b32 s24, -1, 0
	s_cmp_lg_u32 s2, 0
	s_cselect_b32 s2, -1, 0
	s_wait_alu 0xfffe
	s_or_b32 s0, s0, s2
	s_wait_alu 0xfffe
	s_and_b32 vcc_lo, exec_lo, s0
	s_mov_b32 s0, -1
	s_cbranch_vccz .LBB16_99
; %bb.79:
	s_sub_co_i32 s0, 0, s18
	s_mov_b32 s3, exec_lo
	s_wait_alu 0xfffe
	s_bfe_u32 s0, s0, 0x30001
	s_wait_alu 0xfffe
	s_min_i32 s2, s0, s1
	s_wait_alu 0xfffe
	v_cmpx_gt_i32_e64 s2, v0
	s_cbranch_execz .LBB16_82
; %bb.80:
	v_dual_mov_b32 v2, 0 :: v_dual_lshlrev_b32 v1, 1, v0
	v_mov_b32_e32 v3, v0
	s_mov_b32 s16, 0
	s_lshl_b32 s17, s28, 1
.LBB16_81:                              ; =>This Inner Loop Header: Depth=1
	s_delay_alu instid0(VALU_DEP_2)
	v_add_co_u32 v4, vcc_lo, s18, v1
	s_wait_alu 0xfffd
	v_add_co_ci_u32_e64 v5, null, s19, v2, vcc_lo
	v_add_nc_u32_e32 v3, s28, v3
	global_load_u16 v6, v[4:5], off
	v_add_co_u32 v4, vcc_lo, s22, v1
	s_wait_alu 0xfffd
	v_add_co_ci_u32_e64 v5, null, s23, v2, vcc_lo
	v_cmp_le_i32_e32 vcc_lo, s2, v3
	s_wait_alu 0xfffe
	v_add_co_u32 v1, s0, v1, s17
	s_wait_alu 0xf1ff
	v_add_co_ci_u32_e64 v2, null, 0, v2, s0
	s_or_b32 s16, vcc_lo, s16
	s_wait_loadcnt 0x0
	global_store_b16 v[4:5], v6, off
	s_wait_alu 0xfffe
	s_and_not1_b32 exec_lo, exec_lo, s16
	s_cbranch_execnz .LBB16_81
.LBB16_82:
	s_or_b32 exec_lo, exec_lo, s3
	s_sub_co_i32 s25, s1, s2
	s_ashr_i32 s3, s2, 31
	s_wait_alu 0xfffe
	s_ashr_i32 s0, s25, 31
	s_lshl_b64 s[2:3], s[2:3], 1
	s_wait_alu 0xfffe
	s_lshr_b32 s0, s0, 29
	s_add_nc_u64 s[16:17], s[18:19], s[2:3]
	s_wait_alu 0xfffe
	s_add_co_i32 s0, s25, s0
	s_add_nc_u64 s[20:21], s[22:23], s[2:3]
	s_wait_alu 0xfffe
	s_ashr_i32 s26, s0, 3
	s_mov_b32 s27, exec_lo
	s_wait_alu 0xfffe
	v_cmpx_gt_i32_e64 s26, v0
	s_cbranch_execz .LBB16_90
; %bb.83:
	v_add_nc_u32_e32 v1, 1, v0
	s_and_b32 s0, s28, 0xffff
	s_wait_alu 0xfffe
	s_cmp_eq_u32 s0, 1
	s_cselect_b32 s0, -1, 0
	v_max_i32_e32 v2, s26, v1
	s_delay_alu instid0(VALU_DEP_1) | instskip(SKIP_1) | instid1(VALU_DEP_2)
	v_sub_nc_u32_e32 v5, v2, v0
	v_mov_b32_e32 v2, v0
	v_cmp_lt_u32_e32 vcc_lo, 1, v5
	s_wait_alu 0xfffe
	s_and_b32 s30, vcc_lo, s0
	s_mov_b32 s0, -1
	s_wait_alu 0xfffe
	s_and_saveexec_b32 s29, s30
	s_cbranch_execz .LBB16_87
; %bb.84:
	v_and_b32_e32 v6, -2, v5
	v_dual_mov_b32 v4, v1 :: v_dual_mov_b32 v3, v0
	v_mov_b32_e32 v2, 0
	s_mov_b32 s30, 0
	s_delay_alu instid0(VALU_DEP_3)
	v_mov_b32_e32 v7, v6
.LBB16_85:                              ; =>This Inner Loop Header: Depth=1
	s_delay_alu instid0(VALU_DEP_3) | instskip(NEXT) | instid1(VALU_DEP_2)
	v_mov_b32_e32 v1, v3
	v_add_nc_u32_e32 v7, -2, v7
	v_add_nc_u32_e32 v3, 2, v3
	s_delay_alu instid0(VALU_DEP_3) | instskip(SKIP_1) | instid1(VALU_DEP_1)
	v_lshlrev_b64_e32 v[16:17], 4, v[1:2]
	v_dual_mov_b32 v1, v4 :: v_dual_add_nc_u32 v4, 2, v4
	v_lshlrev_b64_e32 v[18:19], 4, v[1:2]
	s_delay_alu instid0(VALU_DEP_3) | instskip(SKIP_1) | instid1(VALU_DEP_4)
	v_add_co_u32 v8, vcc_lo, s16, v16
	s_wait_alu 0xfffd
	v_add_co_ci_u32_e64 v9, null, s17, v17, vcc_lo
	v_add_co_u32 v16, s0, s20, v16
	s_delay_alu instid0(VALU_DEP_4)
	v_add_co_u32 v12, vcc_lo, s16, v18
	s_wait_alu 0xfffd
	v_add_co_ci_u32_e64 v13, null, s17, v19, vcc_lo
	s_clause 0x1
	global_load_b128 v[8:11], v[8:9], off
	global_load_b128 v[12:15], v[12:13], off
	v_cmp_eq_u32_e32 vcc_lo, 0, v7
	s_wait_alu 0xf1ff
	v_add_co_ci_u32_e64 v17, null, s21, v17, s0
	v_add_co_u32 v18, s0, s20, v18
	s_wait_alu 0xf1ff
	v_add_co_ci_u32_e64 v19, null, s21, v19, s0
	s_wait_alu 0xfffe
	s_or_b32 s30, vcc_lo, s30
	s_wait_loadcnt 0x1
	global_store_b128 v[16:17], v[8:11], off
	s_wait_loadcnt 0x0
	global_store_b128 v[18:19], v[12:15], off
	s_wait_alu 0xfffe
	s_and_not1_b32 exec_lo, exec_lo, s30
	s_cbranch_execnz .LBB16_85
; %bb.86:
	s_or_b32 exec_lo, exec_lo, s30
	v_cmp_ne_u32_e32 vcc_lo, v5, v6
	v_add_nc_u32_e32 v2, v0, v6
	s_or_not1_b32 s0, vcc_lo, exec_lo
.LBB16_87:
	s_wait_alu 0xfffe
	s_or_b32 exec_lo, exec_lo, s29
	s_delay_alu instid0(SALU_CYCLE_1)
	s_and_b32 exec_lo, exec_lo, s0
	s_cbranch_execz .LBB16_90
; %bb.88:
	v_mov_b32_e32 v3, 0
	s_add_nc_u64 s[30:31], s[12:13], s[14:15]
	s_wait_alu 0xfffe
	s_add_nc_u64 s[8:9], s[8:9], s[30:31]
	s_delay_alu instid0(VALU_DEP_1) | instskip(SKIP_1) | instid1(VALU_DEP_1)
	v_lshlrev_b64_e32 v[4:5], 4, v[2:3]
	s_wait_alu 0xfffe
	v_add_co_u32 v1, vcc_lo, s8, v4
	s_wait_alu 0xfffd
	s_delay_alu instid0(VALU_DEP_2)
	v_add_co_ci_u32_e64 v3, null, s9, v5, vcc_lo
	v_add_co_u32 v4, vcc_lo, s18, v4
	s_wait_alu 0xfffd
	v_add_co_ci_u32_e64 v5, null, s19, v5, vcc_lo
	s_mov_b32 s8, 0
	s_lshl_b32 s9, s28, 4
.LBB16_89:                              ; =>This Inner Loop Header: Depth=1
	v_add_co_u32 v6, vcc_lo, v4, s2
	s_wait_alu 0xfffd
	v_add_co_ci_u32_e64 v7, null, s3, v5, vcc_lo
	v_add_nc_u32_e32 v2, s28, v2
	v_add_co_u32 v10, vcc_lo, v1, s2
	global_load_b128 v[6:9], v[6:7], off
	s_wait_alu 0xfffd
	v_add_co_ci_u32_e64 v11, null, s3, v3, vcc_lo
	s_wait_alu 0xfffe
	v_add_co_u32 v1, vcc_lo, v1, s9
	s_wait_alu 0xfffd
	v_add_co_ci_u32_e64 v3, null, 0, v3, vcc_lo
	v_cmp_le_i32_e32 vcc_lo, s26, v2
	v_add_co_u32 v4, s0, v4, s9
	s_wait_alu 0xf1ff
	v_add_co_ci_u32_e64 v5, null, 0, v5, s0
	s_or_b32 s8, vcc_lo, s8
	s_wait_loadcnt 0x0
	global_store_b128 v[10:11], v[6:9], off
	s_wait_alu 0xfffe
	s_and_not1_b32 exec_lo, exec_lo, s8
	s_cbranch_execnz .LBB16_89
.LBB16_90:
	s_or_b32 exec_lo, exec_lo, s27
	v_lshl_add_u32 v1, s26, 3, v0
	s_mov_b32 s8, exec_lo
	s_delay_alu instid0(VALU_DEP_1)
	v_cmpx_gt_i32_e64 s25, v1
	s_cbranch_execz .LBB16_98
; %bb.91:
	v_add_nc_u32_e32 v2, 1, v1
	s_and_b32 s0, s28, 0xffff
	s_wait_alu 0xfffe
	s_cmp_eq_u32 s0, 1
	s_cselect_b32 s0, -1, 0
	v_max_i32_e32 v2, s25, v2
	s_delay_alu instid0(VALU_DEP_1) | instskip(NEXT) | instid1(VALU_DEP_1)
	v_sub_nc_u32_e32 v4, v2, v1
	v_cmp_lt_u32_e32 vcc_lo, 3, v4
	s_wait_alu 0xfffe
	s_and_b32 s26, vcc_lo, s0
	s_mov_b32 s0, -1
	s_wait_alu 0xfffe
	s_and_saveexec_b32 s9, s26
	s_cbranch_execz .LBB16_95
; %bb.92:
	v_dual_mov_b32 v2, v1 :: v_dual_and_b32 v5, -4, v4
	s_mov_b32 s26, 0
	s_delay_alu instid0(VALU_DEP_1)
	v_mov_b32_e32 v6, v5
.LBB16_93:                              ; =>This Inner Loop Header: Depth=1
	s_delay_alu instid0(VALU_DEP_2) | instskip(NEXT) | instid1(VALU_DEP_2)
	v_ashrrev_i32_e32 v3, 31, v2
	v_add_nc_u32_e32 v6, -4, v6
	s_delay_alu instid0(VALU_DEP_2) | instskip(SKIP_1) | instid1(VALU_DEP_2)
	v_lshlrev_b64_e32 v[7:8], 1, v[2:3]
	v_add_nc_u32_e32 v2, 4, v2
	v_add_co_u32 v9, vcc_lo, s16, v7
	s_wait_alu 0xfffd
	s_delay_alu instid0(VALU_DEP_3)
	v_add_co_ci_u32_e64 v10, null, s17, v8, vcc_lo
	v_cmp_eq_u32_e32 vcc_lo, 0, v6
	v_add_co_u32 v7, s0, s20, v7
	global_load_b64 v[9:10], v[9:10], off
	s_wait_alu 0xf1ff
	v_add_co_ci_u32_e64 v8, null, s21, v8, s0
	s_wait_alu 0xfffe
	s_or_b32 s26, vcc_lo, s26
	s_wait_loadcnt 0x0
	global_store_b64 v[7:8], v[9:10], off
	s_wait_alu 0xfffe
	s_and_not1_b32 exec_lo, exec_lo, s26
	s_cbranch_execnz .LBB16_93
; %bb.94:
	s_or_b32 exec_lo, exec_lo, s26
	v_cmp_ne_u32_e32 vcc_lo, v4, v5
	v_add_nc_u32_e32 v1, v1, v5
	s_or_not1_b32 s0, vcc_lo, exec_lo
.LBB16_95:
	s_wait_alu 0xfffe
	s_or_b32 exec_lo, exec_lo, s9
	s_delay_alu instid0(SALU_CYCLE_1)
	s_and_b32 exec_lo, exec_lo, s0
	s_cbranch_execz .LBB16_98
; %bb.96:
	v_ashrrev_i32_e32 v2, 31, v1
	s_delay_alu instid0(VALU_DEP_1) | instskip(NEXT) | instid1(VALU_DEP_1)
	v_lshlrev_b64_e32 v[2:3], 1, v[1:2]
	v_add_co_u32 v2, vcc_lo, s2, v2
	s_wait_alu 0xfffd
	s_delay_alu instid0(VALU_DEP_2)
	v_add_co_ci_u32_e64 v3, null, s3, v3, vcc_lo
	s_lshl_b32 s2, s28, 1
	s_mov_b32 s3, 0
.LBB16_97:                              ; =>This Inner Loop Header: Depth=1
	v_add_co_u32 v4, vcc_lo, s18, v2
	s_wait_alu 0xfffd
	v_add_co_ci_u32_e64 v5, null, s19, v3, vcc_lo
	v_add_nc_u32_e32 v1, s28, v1
	global_load_u16 v6, v[4:5], off
	v_add_co_u32 v4, vcc_lo, s22, v2
	s_wait_alu 0xfffd
	v_add_co_ci_u32_e64 v5, null, s23, v3, vcc_lo
	v_cmp_le_i32_e32 vcc_lo, s25, v1
	s_wait_alu 0xfffe
	v_add_co_u32 v2, s0, v2, s2
	s_wait_alu 0xf1ff
	v_add_co_ci_u32_e64 v3, null, 0, v3, s0
	s_or_b32 s3, vcc_lo, s3
	s_wait_loadcnt 0x0
	global_store_b16 v[4:5], v6, off
	s_wait_alu 0xfffe
	s_and_not1_b32 exec_lo, exec_lo, s3
	s_cbranch_execnz .LBB16_97
.LBB16_98:
	s_wait_alu 0xfffe
	s_or_b32 exec_lo, exec_lo, s8
	s_mov_b32 s0, 0
.LBB16_99:
	s_wait_alu 0xfffe
	s_and_b32 vcc_lo, exec_lo, s0
	s_wait_alu 0xfffe
	s_cbranch_vccz .LBB16_109
; %bb.100:
	s_ashr_i32 s2, s1, 3
	s_mov_b32 s3, exec_lo
	s_wait_alu 0xfffe
	v_cmpx_gt_i32_e64 s2, v0
	s_cbranch_execz .LBB16_108
; %bb.101:
	v_add_nc_u32_e32 v1, 1, v0
	s_and_b32 s0, s28, 0xffff
	s_wait_alu 0xfffe
	s_cmp_eq_u32 s0, 1
	s_cselect_b32 s0, -1, 0
	v_max_i32_e32 v2, s2, v1
	s_delay_alu instid0(VALU_DEP_1) | instskip(SKIP_1) | instid1(VALU_DEP_2)
	v_sub_nc_u32_e32 v5, v2, v0
	v_mov_b32_e32 v2, v0
	v_cmp_lt_u32_e32 vcc_lo, 1, v5
	s_wait_alu 0xfffe
	s_and_b32 s9, vcc_lo, s0
	s_mov_b32 s0, -1
	s_wait_alu 0xfffe
	s_and_saveexec_b32 s8, s9
	s_cbranch_execz .LBB16_105
; %bb.102:
	v_and_b32_e32 v6, -2, v5
	v_dual_mov_b32 v4, v1 :: v_dual_mov_b32 v3, v0
	v_mov_b32_e32 v2, 0
	s_mov_b32 s9, 0
	s_delay_alu instid0(VALU_DEP_3)
	v_mov_b32_e32 v7, v6
.LBB16_103:                             ; =>This Inner Loop Header: Depth=1
	s_delay_alu instid0(VALU_DEP_3) | instskip(NEXT) | instid1(VALU_DEP_2)
	v_mov_b32_e32 v1, v3
	v_add_nc_u32_e32 v7, -2, v7
	v_add_nc_u32_e32 v3, 2, v3
	s_delay_alu instid0(VALU_DEP_3) | instskip(SKIP_1) | instid1(VALU_DEP_1)
	v_lshlrev_b64_e32 v[16:17], 4, v[1:2]
	v_dual_mov_b32 v1, v4 :: v_dual_add_nc_u32 v4, 2, v4
	v_lshlrev_b64_e32 v[18:19], 4, v[1:2]
	s_delay_alu instid0(VALU_DEP_3) | instskip(SKIP_1) | instid1(VALU_DEP_4)
	v_add_co_u32 v8, vcc_lo, s18, v16
	s_wait_alu 0xfffd
	v_add_co_ci_u32_e64 v9, null, s19, v17, vcc_lo
	v_add_co_u32 v16, s0, s22, v16
	s_delay_alu instid0(VALU_DEP_4)
	v_add_co_u32 v12, vcc_lo, s18, v18
	s_wait_alu 0xfffd
	v_add_co_ci_u32_e64 v13, null, s19, v19, vcc_lo
	s_clause 0x1
	global_load_b128 v[8:11], v[8:9], off
	global_load_b128 v[12:15], v[12:13], off
	v_cmp_eq_u32_e32 vcc_lo, 0, v7
	s_wait_alu 0xf1ff
	v_add_co_ci_u32_e64 v17, null, s23, v17, s0
	v_add_co_u32 v18, s0, s22, v18
	s_wait_alu 0xf1ff
	v_add_co_ci_u32_e64 v19, null, s23, v19, s0
	s_wait_alu 0xfffe
	s_or_b32 s9, vcc_lo, s9
	s_wait_loadcnt 0x1
	global_store_b128 v[16:17], v[8:11], off
	s_wait_loadcnt 0x0
	global_store_b128 v[18:19], v[12:15], off
	s_wait_alu 0xfffe
	s_and_not1_b32 exec_lo, exec_lo, s9
	s_cbranch_execnz .LBB16_103
; %bb.104:
	s_or_b32 exec_lo, exec_lo, s9
	v_cmp_ne_u32_e32 vcc_lo, v5, v6
	v_add_nc_u32_e32 v2, v0, v6
	s_or_not1_b32 s0, vcc_lo, exec_lo
.LBB16_105:
	s_wait_alu 0xfffe
	s_or_b32 exec_lo, exec_lo, s8
	s_delay_alu instid0(SALU_CYCLE_1)
	s_and_b32 exec_lo, exec_lo, s0
	s_cbranch_execz .LBB16_108
; %bb.106:
	v_mov_b32_e32 v3, 0
	s_mov_b32 s8, 0
	s_lshl_b32 s9, s28, 4
	s_delay_alu instid0(VALU_DEP_1)
	v_lshlrev_b64_e32 v[3:4], 4, v[2:3]
.LBB16_107:                             ; =>This Inner Loop Header: Depth=1
	s_delay_alu instid0(VALU_DEP_1) | instskip(SKIP_1) | instid1(VALU_DEP_2)
	v_add_co_u32 v5, vcc_lo, s18, v3
	s_wait_alu 0xfffd
	v_add_co_ci_u32_e64 v6, null, s19, v4, vcc_lo
	v_add_nc_u32_e32 v2, s28, v2
	v_add_co_u32 v9, vcc_lo, s22, v3
	global_load_b128 v[5:8], v[5:6], off
	s_wait_alu 0xfffd
	v_add_co_ci_u32_e64 v10, null, s23, v4, vcc_lo
	v_cmp_le_i32_e32 vcc_lo, s2, v2
	s_wait_alu 0xfffe
	v_add_co_u32 v3, s0, v3, s9
	s_wait_alu 0xf1ff
	v_add_co_ci_u32_e64 v4, null, 0, v4, s0
	s_or_b32 s8, vcc_lo, s8
	s_wait_loadcnt 0x0
	global_store_b128 v[9:10], v[5:8], off
	s_wait_alu 0xfffe
	s_and_not1_b32 exec_lo, exec_lo, s8
	s_cbranch_execnz .LBB16_107
.LBB16_108:
	s_or_b32 exec_lo, exec_lo, s3
.LBB16_109:
	s_and_b32 s2, s4, 15
	s_mov_b32 s3, 0
	s_wait_alu 0xfffe
	s_cmp_lg_u64 s[2:3], 0
	s_cselect_b32 s0, -1, 0
	s_xor_b32 s2, s24, -1
	s_wait_alu 0xfffe
	s_or_b32 s0, s2, s0
	s_wait_alu 0xfffe
	s_and_b32 vcc_lo, exec_lo, s0
	s_mov_b32 s0, -1
	s_wait_alu 0xfffe
	s_cbranch_vccz .LBB16_130
; %bb.110:
	s_sub_co_i32 s0, 0, s4
	s_mov_b32 s3, exec_lo
	s_wait_alu 0xfffe
	s_bfe_u32 s0, s0, 0x30001
	s_wait_alu 0xfffe
	s_min_i32 s2, s0, s1
	s_wait_alu 0xfffe
	v_cmpx_gt_i32_e64 s2, v0
	s_cbranch_execz .LBB16_113
; %bb.111:
	v_dual_mov_b32 v2, 0 :: v_dual_lshlrev_b32 v1, 1, v0
	v_mov_b32_e32 v3, v0
	s_mov_b32 s8, 0
	s_lshl_b32 s9, s28, 1
.LBB16_112:                             ; =>This Inner Loop Header: Depth=1
	s_delay_alu instid0(VALU_DEP_2)
	v_add_co_u32 v4, vcc_lo, s4, v1
	s_wait_alu 0xfffd
	v_add_co_ci_u32_e64 v5, null, s5, v2, vcc_lo
	v_add_nc_u32_e32 v3, s28, v3
	global_load_u16 v6, v[4:5], off
	v_add_co_u32 v4, vcc_lo, s6, v1
	s_wait_alu 0xfffd
	v_add_co_ci_u32_e64 v5, null, s7, v2, vcc_lo
	v_cmp_le_i32_e32 vcc_lo, s2, v3
	s_wait_alu 0xfffe
	v_add_co_u32 v1, s0, v1, s9
	s_wait_alu 0xf1ff
	v_add_co_ci_u32_e64 v2, null, 0, v2, s0
	s_or_b32 s8, vcc_lo, s8
	s_wait_loadcnt 0x0
	global_store_b16 v[4:5], v6, off
	s_wait_alu 0xfffe
	s_and_not1_b32 exec_lo, exec_lo, s8
	s_cbranch_execnz .LBB16_112
.LBB16_113:
	s_or_b32 exec_lo, exec_lo, s3
	s_sub_co_i32 s18, s1, s2
	s_ashr_i32 s3, s2, 31
	s_wait_alu 0xfffe
	s_ashr_i32 s0, s18, 31
	s_lshl_b64 s[2:3], s[2:3], 1
	s_wait_alu 0xfffe
	s_lshr_b32 s0, s0, 29
	s_add_nc_u64 s[8:9], s[4:5], s[2:3]
	s_wait_alu 0xfffe
	s_add_co_i32 s0, s18, s0
	s_add_nc_u64 s[16:17], s[6:7], s[2:3]
	s_wait_alu 0xfffe
	s_ashr_i32 s19, s0, 3
	s_mov_b32 s20, exec_lo
	s_wait_alu 0xfffe
	v_cmpx_gt_i32_e64 s19, v0
	s_cbranch_execz .LBB16_121
; %bb.114:
	v_add_nc_u32_e32 v1, 1, v0
	s_and_b32 s0, s28, 0xffff
	s_wait_alu 0xfffe
	s_cmp_eq_u32 s0, 1
	s_cselect_b32 s0, -1, 0
	v_max_i32_e32 v2, s19, v1
	s_delay_alu instid0(VALU_DEP_1) | instskip(SKIP_1) | instid1(VALU_DEP_2)
	v_sub_nc_u32_e32 v5, v2, v0
	v_mov_b32_e32 v2, v0
	v_cmp_lt_u32_e32 vcc_lo, 1, v5
	s_wait_alu 0xfffe
	s_and_b32 s22, vcc_lo, s0
	s_mov_b32 s0, -1
	s_wait_alu 0xfffe
	s_and_saveexec_b32 s21, s22
	s_cbranch_execz .LBB16_118
; %bb.115:
	v_and_b32_e32 v6, -2, v5
	v_dual_mov_b32 v4, v1 :: v_dual_mov_b32 v3, v0
	v_mov_b32_e32 v2, 0
	s_mov_b32 s22, 0
	s_delay_alu instid0(VALU_DEP_3)
	v_mov_b32_e32 v7, v6
.LBB16_116:                             ; =>This Inner Loop Header: Depth=1
	s_delay_alu instid0(VALU_DEP_3) | instskip(NEXT) | instid1(VALU_DEP_2)
	v_mov_b32_e32 v1, v3
	v_add_nc_u32_e32 v7, -2, v7
	v_add_nc_u32_e32 v3, 2, v3
	s_delay_alu instid0(VALU_DEP_3) | instskip(SKIP_1) | instid1(VALU_DEP_1)
	v_lshlrev_b64_e32 v[16:17], 4, v[1:2]
	v_dual_mov_b32 v1, v4 :: v_dual_add_nc_u32 v4, 2, v4
	v_lshlrev_b64_e32 v[18:19], 4, v[1:2]
	s_delay_alu instid0(VALU_DEP_3) | instskip(SKIP_1) | instid1(VALU_DEP_4)
	v_add_co_u32 v8, vcc_lo, s8, v16
	s_wait_alu 0xfffd
	v_add_co_ci_u32_e64 v9, null, s9, v17, vcc_lo
	v_add_co_u32 v16, s0, s16, v16
	s_delay_alu instid0(VALU_DEP_4)
	v_add_co_u32 v12, vcc_lo, s8, v18
	s_wait_alu 0xfffd
	v_add_co_ci_u32_e64 v13, null, s9, v19, vcc_lo
	s_clause 0x1
	global_load_b128 v[8:11], v[8:9], off
	global_load_b128 v[12:15], v[12:13], off
	v_cmp_eq_u32_e32 vcc_lo, 0, v7
	s_wait_alu 0xf1ff
	v_add_co_ci_u32_e64 v17, null, s17, v17, s0
	v_add_co_u32 v18, s0, s16, v18
	s_wait_alu 0xf1ff
	v_add_co_ci_u32_e64 v19, null, s17, v19, s0
	s_wait_alu 0xfffe
	s_or_b32 s22, vcc_lo, s22
	s_wait_loadcnt 0x1
	global_store_b128 v[16:17], v[8:11], off
	s_wait_loadcnt 0x0
	global_store_b128 v[18:19], v[12:15], off
	s_wait_alu 0xfffe
	s_and_not1_b32 exec_lo, exec_lo, s22
	s_cbranch_execnz .LBB16_116
; %bb.117:
	s_or_b32 exec_lo, exec_lo, s22
	v_cmp_ne_u32_e32 vcc_lo, v5, v6
	v_add_nc_u32_e32 v2, v0, v6
	s_or_not1_b32 s0, vcc_lo, exec_lo
.LBB16_118:
	s_wait_alu 0xfffe
	s_or_b32 exec_lo, exec_lo, s21
	s_delay_alu instid0(SALU_CYCLE_1)
	s_and_b32 exec_lo, exec_lo, s0
	s_cbranch_execz .LBB16_121
; %bb.119:
	v_mov_b32_e32 v3, 0
	s_add_nc_u64 s[12:13], s[12:13], s[14:15]
	s_delay_alu instid0(SALU_CYCLE_1) | instskip(NEXT) | instid1(VALU_DEP_1)
	s_add_nc_u64 s[10:11], s[10:11], s[12:13]
	v_lshlrev_b64_e32 v[4:5], 4, v[2:3]
	s_wait_alu 0xfffe
	s_delay_alu instid0(VALU_DEP_1) | instskip(SKIP_1) | instid1(VALU_DEP_2)
	v_add_co_u32 v1, vcc_lo, s10, v4
	s_wait_alu 0xfffd
	v_add_co_ci_u32_e64 v3, null, s11, v5, vcc_lo
	v_add_co_u32 v4, vcc_lo, s4, v4
	s_wait_alu 0xfffd
	v_add_co_ci_u32_e64 v5, null, s5, v5, vcc_lo
	s_mov_b32 s10, 0
	s_lshl_b32 s11, s28, 4
.LBB16_120:                             ; =>This Inner Loop Header: Depth=1
	v_add_co_u32 v6, vcc_lo, v4, s2
	s_wait_alu 0xfffd
	v_add_co_ci_u32_e64 v7, null, s3, v5, vcc_lo
	v_add_nc_u32_e32 v2, s28, v2
	v_add_co_u32 v10, vcc_lo, v1, s2
	global_load_b128 v[6:9], v[6:7], off
	s_wait_alu 0xfffd
	v_add_co_ci_u32_e64 v11, null, s3, v3, vcc_lo
	s_wait_alu 0xfffe
	v_add_co_u32 v1, vcc_lo, v1, s11
	s_wait_alu 0xfffd
	v_add_co_ci_u32_e64 v3, null, 0, v3, vcc_lo
	v_cmp_le_i32_e32 vcc_lo, s19, v2
	v_add_co_u32 v4, s0, v4, s11
	s_wait_alu 0xf1ff
	v_add_co_ci_u32_e64 v5, null, 0, v5, s0
	s_or_b32 s10, vcc_lo, s10
	s_wait_loadcnt 0x0
	global_store_b128 v[10:11], v[6:9], off
	s_wait_alu 0xfffe
	s_and_not1_b32 exec_lo, exec_lo, s10
	s_cbranch_execnz .LBB16_120
.LBB16_121:
	s_or_b32 exec_lo, exec_lo, s20
	v_lshl_add_u32 v1, s19, 3, v0
	s_mov_b32 s10, exec_lo
	s_delay_alu instid0(VALU_DEP_1)
	v_cmpx_gt_i32_e64 s18, v1
	s_cbranch_execz .LBB16_129
; %bb.122:
	v_add_nc_u32_e32 v2, 1, v1
	s_and_b32 s0, s28, 0xffff
	s_wait_alu 0xfffe
	s_cmp_eq_u32 s0, 1
	s_cselect_b32 s0, -1, 0
	v_max_i32_e32 v2, s18, v2
	s_delay_alu instid0(VALU_DEP_1) | instskip(NEXT) | instid1(VALU_DEP_1)
	v_sub_nc_u32_e32 v4, v2, v1
	v_cmp_lt_u32_e32 vcc_lo, 3, v4
	s_wait_alu 0xfffe
	s_and_b32 s12, vcc_lo, s0
	s_mov_b32 s0, -1
	s_and_saveexec_b32 s11, s12
	s_cbranch_execz .LBB16_126
; %bb.123:
	v_dual_mov_b32 v2, v1 :: v_dual_and_b32 v5, -4, v4
	s_mov_b32 s12, 0
	s_delay_alu instid0(VALU_DEP_1)
	v_mov_b32_e32 v6, v5
.LBB16_124:                             ; =>This Inner Loop Header: Depth=1
	s_delay_alu instid0(VALU_DEP_2) | instskip(NEXT) | instid1(VALU_DEP_2)
	v_ashrrev_i32_e32 v3, 31, v2
	v_add_nc_u32_e32 v6, -4, v6
	s_delay_alu instid0(VALU_DEP_2) | instskip(SKIP_1) | instid1(VALU_DEP_2)
	v_lshlrev_b64_e32 v[7:8], 1, v[2:3]
	v_add_nc_u32_e32 v2, 4, v2
	v_add_co_u32 v9, vcc_lo, s8, v7
	s_wait_alu 0xfffd
	s_delay_alu instid0(VALU_DEP_3)
	v_add_co_ci_u32_e64 v10, null, s9, v8, vcc_lo
	v_cmp_eq_u32_e32 vcc_lo, 0, v6
	v_add_co_u32 v7, s0, s16, v7
	global_load_b64 v[9:10], v[9:10], off
	s_wait_alu 0xf1fe
	v_add_co_ci_u32_e64 v8, null, s17, v8, s0
	s_or_b32 s12, vcc_lo, s12
	s_wait_loadcnt 0x0
	global_store_b64 v[7:8], v[9:10], off
	s_and_not1_b32 exec_lo, exec_lo, s12
	s_cbranch_execnz .LBB16_124
; %bb.125:
	s_or_b32 exec_lo, exec_lo, s12
	v_cmp_ne_u32_e32 vcc_lo, v4, v5
	v_add_nc_u32_e32 v1, v1, v5
	s_or_not1_b32 s0, vcc_lo, exec_lo
.LBB16_126:
	s_wait_alu 0xfffe
	s_or_b32 exec_lo, exec_lo, s11
	s_delay_alu instid0(SALU_CYCLE_1)
	s_and_b32 exec_lo, exec_lo, s0
	s_cbranch_execz .LBB16_129
; %bb.127:
	v_ashrrev_i32_e32 v2, 31, v1
	s_delay_alu instid0(VALU_DEP_1) | instskip(NEXT) | instid1(VALU_DEP_1)
	v_lshlrev_b64_e32 v[2:3], 1, v[1:2]
	v_add_co_u32 v2, vcc_lo, s2, v2
	s_wait_alu 0xfffd
	s_delay_alu instid0(VALU_DEP_2)
	v_add_co_ci_u32_e64 v3, null, s3, v3, vcc_lo
	s_lshl_b32 s2, s28, 1
	s_mov_b32 s3, 0
.LBB16_128:                             ; =>This Inner Loop Header: Depth=1
	v_add_co_u32 v4, vcc_lo, s4, v2
	s_wait_alu 0xfffd
	v_add_co_ci_u32_e64 v5, null, s5, v3, vcc_lo
	v_add_nc_u32_e32 v1, s28, v1
	global_load_u16 v6, v[4:5], off
	v_add_co_u32 v4, vcc_lo, s6, v2
	s_wait_alu 0xfffd
	v_add_co_ci_u32_e64 v5, null, s7, v3, vcc_lo
	v_cmp_le_i32_e32 vcc_lo, s18, v1
	s_wait_alu 0xfffe
	v_add_co_u32 v2, s0, v2, s2
	s_wait_alu 0xf1ff
	v_add_co_ci_u32_e64 v3, null, 0, v3, s0
	s_or_b32 s3, vcc_lo, s3
	s_wait_loadcnt 0x0
	global_store_b16 v[4:5], v6, off
	s_wait_alu 0xfffe
	s_and_not1_b32 exec_lo, exec_lo, s3
	s_cbranch_execnz .LBB16_128
.LBB16_129:
	s_wait_alu 0xfffe
	s_or_b32 exec_lo, exec_lo, s10
	s_mov_b32 s0, 0
.LBB16_130:
	s_wait_alu 0xfffe
	s_and_b32 vcc_lo, exec_lo, s0
	s_wait_alu 0xfffe
	s_cbranch_vccz .LBB16_139
; %bb.131:
	s_ashr_i32 s1, s1, 3
	s_mov_b32 s0, exec_lo
	s_wait_alu 0xfffe
	v_cmpx_gt_i32_e64 s1, v0
	s_cbranch_execz .LBB16_139
; %bb.132:
	v_add_nc_u32_e32 v1, 1, v0
	s_and_b32 s0, s28, 0xffff
	s_wait_alu 0xfffe
	s_cmp_eq_u32 s0, 1
	s_cselect_b32 s0, -1, 0
	v_max_i32_e32 v2, s1, v1
	s_delay_alu instid0(VALU_DEP_1) | instskip(NEXT) | instid1(VALU_DEP_1)
	v_sub_nc_u32_e32 v5, v2, v0
	v_cmp_lt_u32_e32 vcc_lo, 1, v5
	s_wait_alu 0xfffe
	s_and_b32 s3, vcc_lo, s0
	s_mov_b32 s0, -1
	s_wait_alu 0xfffe
	s_and_saveexec_b32 s2, s3
	s_cbranch_execz .LBB16_136
; %bb.133:
	v_and_b32_e32 v6, -2, v5
	v_dual_mov_b32 v4, v1 :: v_dual_mov_b32 v3, v0
	v_mov_b32_e32 v2, 0
	s_mov_b32 s3, 0
	s_delay_alu instid0(VALU_DEP_3)
	v_mov_b32_e32 v7, v6
.LBB16_134:                             ; =>This Inner Loop Header: Depth=1
	s_delay_alu instid0(VALU_DEP_3) | instskip(NEXT) | instid1(VALU_DEP_2)
	v_mov_b32_e32 v1, v3
	v_add_nc_u32_e32 v7, -2, v7
	v_add_nc_u32_e32 v3, 2, v3
	s_delay_alu instid0(VALU_DEP_3) | instskip(SKIP_1) | instid1(VALU_DEP_1)
	v_lshlrev_b64_e32 v[16:17], 4, v[1:2]
	v_dual_mov_b32 v1, v4 :: v_dual_add_nc_u32 v4, 2, v4
	v_lshlrev_b64_e32 v[18:19], 4, v[1:2]
	s_delay_alu instid0(VALU_DEP_3) | instskip(SKIP_1) | instid1(VALU_DEP_4)
	v_add_co_u32 v8, vcc_lo, s4, v16
	s_wait_alu 0xfffd
	v_add_co_ci_u32_e64 v9, null, s5, v17, vcc_lo
	v_add_co_u32 v16, s0, s6, v16
	s_delay_alu instid0(VALU_DEP_4)
	v_add_co_u32 v12, vcc_lo, s4, v18
	s_wait_alu 0xfffd
	v_add_co_ci_u32_e64 v13, null, s5, v19, vcc_lo
	s_clause 0x1
	global_load_b128 v[8:11], v[8:9], off
	global_load_b128 v[12:15], v[12:13], off
	v_cmp_eq_u32_e32 vcc_lo, 0, v7
	s_wait_alu 0xf1ff
	v_add_co_ci_u32_e64 v17, null, s7, v17, s0
	v_add_co_u32 v18, s0, s6, v18
	s_wait_alu 0xf1ff
	v_add_co_ci_u32_e64 v19, null, s7, v19, s0
	s_wait_alu 0xfffe
	s_or_b32 s3, vcc_lo, s3
	s_wait_loadcnt 0x1
	global_store_b128 v[16:17], v[8:11], off
	s_wait_loadcnt 0x0
	global_store_b128 v[18:19], v[12:15], off
	s_wait_alu 0xfffe
	s_and_not1_b32 exec_lo, exec_lo, s3
	s_cbranch_execnz .LBB16_134
; %bb.135:
	s_or_b32 exec_lo, exec_lo, s3
	v_cmp_ne_u32_e32 vcc_lo, v5, v6
	v_add_nc_u32_e32 v0, v0, v6
	s_or_not1_b32 s0, vcc_lo, exec_lo
.LBB16_136:
	s_wait_alu 0xfffe
	s_or_b32 exec_lo, exec_lo, s2
	s_delay_alu instid0(SALU_CYCLE_1)
	s_and_b32 exec_lo, exec_lo, s0
	s_cbranch_execz .LBB16_139
; %bb.137:
	v_mov_b32_e32 v1, 0
	s_mov_b32 s2, 0
	s_lshl_b32 s3, s28, 4
	s_delay_alu instid0(VALU_DEP_1)
	v_lshlrev_b64_e32 v[1:2], 4, v[0:1]
.LBB16_138:                             ; =>This Inner Loop Header: Depth=1
	s_delay_alu instid0(VALU_DEP_1) | instskip(SKIP_1) | instid1(VALU_DEP_2)
	v_add_co_u32 v3, vcc_lo, s4, v1
	s_wait_alu 0xfffd
	v_add_co_ci_u32_e64 v4, null, s5, v2, vcc_lo
	v_add_nc_u32_e32 v0, s28, v0
	v_add_co_u32 v7, vcc_lo, s6, v1
	global_load_b128 v[3:6], v[3:4], off
	s_wait_alu 0xfffd
	v_add_co_ci_u32_e64 v8, null, s7, v2, vcc_lo
	v_cmp_le_i32_e32 vcc_lo, s1, v0
	s_wait_alu 0xfffe
	v_add_co_u32 v1, s0, v1, s3
	s_wait_alu 0xf1ff
	v_add_co_ci_u32_e64 v2, null, 0, v2, s0
	s_or_b32 s2, vcc_lo, s2
	s_wait_loadcnt 0x0
	global_store_b128 v[7:8], v[3:6], off
	s_wait_alu 0xfffe
	s_and_not1_b32 exec_lo, exec_lo, s2
	s_cbranch_execnz .LBB16_138
.LBB16_139:
	s_endpgm
.LBB16_140:
                                        ; implicit-def: $sgpr26_sgpr27
	s_load_b256 s[4:11], s[0:1], 0x0
	s_branch .LBB16_3
	.section	.rodata,"a",@progbits
	.p2align	6, 0x0
	.amdhsa_kernel _ZN4vllm30reshape_and_cache_flash_kernelI14__hip_bfloat16S1_LNS_18Fp8KVCacheDataTypeE0EEEvPKT_S5_PT0_S7_PKlllllliiiPKfSB_
		.amdhsa_group_segment_fixed_size 0
		.amdhsa_private_segment_fixed_size 0
		.amdhsa_kernarg_size 368
		.amdhsa_user_sgpr_count 2
		.amdhsa_user_sgpr_dispatch_ptr 0
		.amdhsa_user_sgpr_queue_ptr 0
		.amdhsa_user_sgpr_kernarg_segment_ptr 1
		.amdhsa_user_sgpr_dispatch_id 0
		.amdhsa_user_sgpr_private_segment_size 0
		.amdhsa_wavefront_size32 1
		.amdhsa_uses_dynamic_stack 0
		.amdhsa_enable_private_segment 0
		.amdhsa_system_sgpr_workgroup_id_x 1
		.amdhsa_system_sgpr_workgroup_id_y 0
		.amdhsa_system_sgpr_workgroup_id_z 0
		.amdhsa_system_sgpr_workgroup_info 0
		.amdhsa_system_vgpr_workitem_id 0
		.amdhsa_next_free_vgpr 53
		.amdhsa_next_free_sgpr 38
		.amdhsa_reserve_vcc 1
		.amdhsa_float_round_mode_32 0
		.amdhsa_float_round_mode_16_64 0
		.amdhsa_float_denorm_mode_32 3
		.amdhsa_float_denorm_mode_16_64 3
		.amdhsa_fp16_overflow 0
		.amdhsa_workgroup_processor_mode 1
		.amdhsa_memory_ordered 1
		.amdhsa_forward_progress 1
		.amdhsa_inst_pref_size 72
		.amdhsa_round_robin_scheduling 0
		.amdhsa_exception_fp_ieee_invalid_op 0
		.amdhsa_exception_fp_denorm_src 0
		.amdhsa_exception_fp_ieee_div_zero 0
		.amdhsa_exception_fp_ieee_overflow 0
		.amdhsa_exception_fp_ieee_underflow 0
		.amdhsa_exception_fp_ieee_inexact 0
		.amdhsa_exception_int_div_zero 0
	.end_amdhsa_kernel
	.section	.text._ZN4vllm30reshape_and_cache_flash_kernelI14__hip_bfloat16S1_LNS_18Fp8KVCacheDataTypeE0EEEvPKT_S5_PT0_S7_PKlllllliiiPKfSB_,"axG",@progbits,_ZN4vllm30reshape_and_cache_flash_kernelI14__hip_bfloat16S1_LNS_18Fp8KVCacheDataTypeE0EEEvPKT_S5_PT0_S7_PKlllllliiiPKfSB_,comdat
.Lfunc_end16:
	.size	_ZN4vllm30reshape_and_cache_flash_kernelI14__hip_bfloat16S1_LNS_18Fp8KVCacheDataTypeE0EEEvPKT_S5_PT0_S7_PKlllllliiiPKfSB_, .Lfunc_end16-_ZN4vllm30reshape_and_cache_flash_kernelI14__hip_bfloat16S1_LNS_18Fp8KVCacheDataTypeE0EEEvPKT_S5_PT0_S7_PKlllllliiiPKfSB_
                                        ; -- End function
	.set _ZN4vllm30reshape_and_cache_flash_kernelI14__hip_bfloat16S1_LNS_18Fp8KVCacheDataTypeE0EEEvPKT_S5_PT0_S7_PKlllllliiiPKfSB_.num_vgpr, 53
	.set _ZN4vllm30reshape_and_cache_flash_kernelI14__hip_bfloat16S1_LNS_18Fp8KVCacheDataTypeE0EEEvPKT_S5_PT0_S7_PKlllllliiiPKfSB_.num_agpr, 0
	.set _ZN4vllm30reshape_and_cache_flash_kernelI14__hip_bfloat16S1_LNS_18Fp8KVCacheDataTypeE0EEEvPKT_S5_PT0_S7_PKlllllliiiPKfSB_.numbered_sgpr, 38
	.set _ZN4vllm30reshape_and_cache_flash_kernelI14__hip_bfloat16S1_LNS_18Fp8KVCacheDataTypeE0EEEvPKT_S5_PT0_S7_PKlllllliiiPKfSB_.num_named_barrier, 0
	.set _ZN4vllm30reshape_and_cache_flash_kernelI14__hip_bfloat16S1_LNS_18Fp8KVCacheDataTypeE0EEEvPKT_S5_PT0_S7_PKlllllliiiPKfSB_.private_seg_size, 0
	.set _ZN4vllm30reshape_and_cache_flash_kernelI14__hip_bfloat16S1_LNS_18Fp8KVCacheDataTypeE0EEEvPKT_S5_PT0_S7_PKlllllliiiPKfSB_.uses_vcc, 1
	.set _ZN4vllm30reshape_and_cache_flash_kernelI14__hip_bfloat16S1_LNS_18Fp8KVCacheDataTypeE0EEEvPKT_S5_PT0_S7_PKlllllliiiPKfSB_.uses_flat_scratch, 0
	.set _ZN4vllm30reshape_and_cache_flash_kernelI14__hip_bfloat16S1_LNS_18Fp8KVCacheDataTypeE0EEEvPKT_S5_PT0_S7_PKlllllliiiPKfSB_.has_dyn_sized_stack, 0
	.set _ZN4vllm30reshape_and_cache_flash_kernelI14__hip_bfloat16S1_LNS_18Fp8KVCacheDataTypeE0EEEvPKT_S5_PT0_S7_PKlllllliiiPKfSB_.has_recursion, 0
	.set _ZN4vllm30reshape_and_cache_flash_kernelI14__hip_bfloat16S1_LNS_18Fp8KVCacheDataTypeE0EEEvPKT_S5_PT0_S7_PKlllllliiiPKfSB_.has_indirect_call, 0
	.section	.AMDGPU.csdata,"",@progbits
; Kernel info:
; codeLenInByte = 9104
; TotalNumSgprs: 40
; NumVgprs: 53
; ScratchSize: 0
; MemoryBound: 0
; FloatMode: 240
; IeeeMode: 1
; LDSByteSize: 0 bytes/workgroup (compile time only)
; SGPRBlocks: 0
; VGPRBlocks: 6
; NumSGPRsForWavesPerEU: 40
; NumVGPRsForWavesPerEU: 53
; Occupancy: 16
; WaveLimiterHint : 1
; COMPUTE_PGM_RSRC2:SCRATCH_EN: 0
; COMPUTE_PGM_RSRC2:USER_SGPR: 2
; COMPUTE_PGM_RSRC2:TRAP_HANDLER: 0
; COMPUTE_PGM_RSRC2:TGID_X_EN: 1
; COMPUTE_PGM_RSRC2:TGID_Y_EN: 0
; COMPUTE_PGM_RSRC2:TGID_Z_EN: 0
; COMPUTE_PGM_RSRC2:TIDIG_COMP_CNT: 0
	.section	.text._ZN4vllm30reshape_and_cache_flash_kernelIfhLNS_18Fp8KVCacheDataTypeE1EEEvPKT_S4_PT0_S6_PKlllllliiiPKfSA_,"axG",@progbits,_ZN4vllm30reshape_and_cache_flash_kernelIfhLNS_18Fp8KVCacheDataTypeE1EEEvPKT_S4_PT0_S6_PKlllllliiiPKfSA_,comdat
	.protected	_ZN4vllm30reshape_and_cache_flash_kernelIfhLNS_18Fp8KVCacheDataTypeE1EEEvPKT_S4_PT0_S6_PKlllllliiiPKfSA_ ; -- Begin function _ZN4vllm30reshape_and_cache_flash_kernelIfhLNS_18Fp8KVCacheDataTypeE1EEEvPKT_S4_PT0_S6_PKlllllliiiPKfSA_
	.globl	_ZN4vllm30reshape_and_cache_flash_kernelIfhLNS_18Fp8KVCacheDataTypeE1EEEvPKT_S4_PT0_S6_PKlllllliiiPKfSA_
	.p2align	8
	.type	_ZN4vllm30reshape_and_cache_flash_kernelIfhLNS_18Fp8KVCacheDataTypeE1EEEvPKT_S4_PT0_S6_PKlllllliiiPKfSA_,@function
_ZN4vllm30reshape_and_cache_flash_kernelIfhLNS_18Fp8KVCacheDataTypeE1EEEvPKT_S4_PT0_S6_PKlllllliiiPKfSA_: ; @_ZN4vllm30reshape_and_cache_flash_kernelIfhLNS_18Fp8KVCacheDataTypeE1EEEvPKT_S4_PT0_S6_PKlllllliiiPKfSA_
; %bb.0:
	s_load_b64 s[4:5], s[0:1], 0x20
	s_mov_b32 s2, ttmp9
	s_mov_b32 s3, 0
	s_delay_alu instid0(SALU_CYCLE_1)
	s_lshl_b64 s[6:7], s[2:3], 3
	s_wait_kmcnt 0x0
	s_add_nc_u64 s[4:5], s[4:5], s[6:7]
	s_load_b64 s[4:5], s[4:5], 0x0
	s_wait_kmcnt 0x0
	v_cmp_lt_i64_e64 s6, s[4:5], 0
	s_and_b32 vcc_lo, exec_lo, s6
	s_cbranch_vccnz .LBB17_71
; %bb.1:
	s_load_b96 s[24:26], s[0:1], 0x50
	s_wait_kmcnt 0x0
	s_ashr_i32 s7, s26, 31
	s_mov_b32 s6, s26
	s_delay_alu instid0(SALU_CYCLE_1) | instskip(SKIP_1) | instid1(SALU_CYCLE_1)
	s_or_b64 s[8:9], s[4:5], s[6:7]
	s_mov_b32 s8, s3
	s_cmp_lg_u64 s[8:9], 0
	s_cbranch_scc0 .LBB17_72
; %bb.2:
	s_ashr_i32 s8, s7, 31
	s_mov_b32 s17, 0
	s_mov_b32 s9, s8
	s_delay_alu instid0(SALU_CYCLE_1) | instskip(NEXT) | instid1(SALU_CYCLE_1)
	s_add_nc_u64 s[10:11], s[6:7], s[8:9]
	s_xor_b64 s[10:11], s[10:11], s[8:9]
	s_delay_alu instid0(SALU_CYCLE_1) | instskip(SKIP_2) | instid1(SALU_CYCLE_2)
	s_cvt_f32_u32 s12, s10
	s_cvt_f32_u32 s13, s11
	s_sub_nc_u64 s[14:15], 0, s[10:11]
	s_fmamk_f32 s12, s13, 0x4f800000, s12
	s_delay_alu instid0(SALU_CYCLE_3) | instskip(NEXT) | instid1(TRANS32_DEP_1)
	v_s_rcp_f32 s12, s12
	s_mul_f32 s12, s12, 0x5f7ffffc
	s_wait_alu 0xfffe
	s_delay_alu instid0(SALU_CYCLE_2) | instskip(SKIP_1) | instid1(SALU_CYCLE_2)
	s_mul_f32 s13, s12, 0x2f800000
	s_wait_alu 0xfffe
	s_trunc_f32 s13, s13
	s_wait_alu 0xfffe
	s_delay_alu instid0(SALU_CYCLE_2) | instskip(SKIP_2) | instid1(SALU_CYCLE_1)
	s_fmamk_f32 s12, s13, 0xcf800000, s12
	s_cvt_u32_f32 s13, s13
	s_wait_alu 0xfffe
	s_cvt_u32_f32 s12, s12
	s_wait_alu 0xfffe
	s_delay_alu instid0(SALU_CYCLE_2) | instskip(NEXT) | instid1(SALU_CYCLE_1)
	s_mul_u64 s[18:19], s[14:15], s[12:13]
	s_mul_hi_u32 s21, s12, s19
	s_mul_i32 s20, s12, s19
	s_mul_hi_u32 s16, s12, s18
	s_mul_i32 s23, s13, s18
	s_add_nc_u64 s[20:21], s[16:17], s[20:21]
	s_mul_hi_u32 s22, s13, s18
	s_mul_hi_u32 s26, s13, s19
	s_add_co_u32 s16, s20, s23
	s_add_co_ci_u32 s16, s21, s22
	s_mul_i32 s18, s13, s19
	s_add_co_ci_u32 s19, s26, 0
	s_delay_alu instid0(SALU_CYCLE_1) | instskip(NEXT) | instid1(SALU_CYCLE_1)
	s_add_nc_u64 s[18:19], s[16:17], s[18:19]
	s_add_co_u32 s12, s12, s18
	s_cselect_b32 s16, -1, 0
	s_delay_alu instid0(SALU_CYCLE_1) | instskip(SKIP_3) | instid1(SALU_CYCLE_1)
	s_cmp_lg_u32 s16, 0
	s_add_co_ci_u32 s13, s13, s19
	s_wait_alu 0xfffe
	s_mul_u64 s[14:15], s[14:15], s[12:13]
	s_mul_hi_u32 s19, s12, s15
	s_mul_i32 s18, s12, s15
	s_mul_hi_u32 s16, s12, s14
	s_mul_i32 s21, s13, s14
	s_add_nc_u64 s[18:19], s[16:17], s[18:19]
	s_mul_hi_u32 s20, s13, s14
	s_mul_hi_u32 s22, s13, s15
	s_mul_i32 s14, s13, s15
	s_add_co_u32 s15, s18, s21
	s_add_co_ci_u32 s16, s19, s20
	s_add_co_ci_u32 s15, s22, 0
	s_delay_alu instid0(SALU_CYCLE_1) | instskip(NEXT) | instid1(SALU_CYCLE_1)
	s_add_nc_u64 s[14:15], s[16:17], s[14:15]
	s_add_co_u32 s20, s12, s14
	s_cselect_b32 s12, -1, 0
	s_wait_alu 0xfffe
	s_cmp_lg_u32 s12, 0
	s_add_co_ci_u32 s21, s13, s15
	s_ashr_i32 s12, s5, 31
	s_wait_alu 0xfffe
	s_mov_b32 s13, s12
	s_wait_alu 0xfffe
	s_add_nc_u64 s[14:15], s[4:5], s[12:13]
	s_delay_alu instid0(SALU_CYCLE_1) | instskip(NEXT) | instid1(SALU_CYCLE_1)
	s_xor_b64 s[14:15], s[14:15], s[12:13]
	s_mul_hi_u32 s19, s14, s21
	s_mul_i32 s18, s14, s21
	s_mul_hi_u32 s16, s14, s20
	s_mul_i32 s26, s15, s20
	s_add_nc_u64 s[18:19], s[16:17], s[18:19]
	s_mul_hi_u32 s23, s15, s20
	s_mul_hi_u32 s22, s15, s21
	s_add_co_u32 s16, s18, s26
	s_add_co_ci_u32 s16, s19, s23
	s_mul_i32 s20, s15, s21
	s_add_co_ci_u32 s21, s22, 0
	s_delay_alu instid0(SALU_CYCLE_1) | instskip(NEXT) | instid1(SALU_CYCLE_1)
	s_add_nc_u64 s[18:19], s[16:17], s[20:21]
	s_mul_u64 s[20:21], s[10:11], s[18:19]
	s_delay_alu instid0(SALU_CYCLE_1)
	s_sub_co_u32 s14, s14, s20
	s_cselect_b32 s16, -1, 0
	s_sub_co_i32 s20, s15, s21
	s_cmp_lg_u32 s16, 0
	s_sub_co_ci_u32 s20, s20, s11
	s_sub_co_u32 s22, s14, s10
	s_cselect_b32 s23, -1, 0
	s_delay_alu instid0(SALU_CYCLE_1) | instskip(SKIP_1) | instid1(SALU_CYCLE_1)
	s_cmp_lg_u32 s23, 0
	s_sub_co_ci_u32 s20, s20, 0
	s_cmp_ge_u32 s20, s11
	s_cselect_b32 s26, -1, 0
	s_cmp_ge_u32 s22, s10
	s_add_nc_u64 s[22:23], s[18:19], 1
	s_cselect_b32 s27, -1, 0
	s_cmp_eq_u32 s20, s11
	s_cselect_b32 s20, s27, s26
	s_add_nc_u64 s[26:27], s[18:19], 2
	s_cmp_lg_u32 s20, 0
	s_cselect_b32 s20, s26, s22
	s_cselect_b32 s22, s27, s23
	s_cmp_lg_u32 s16, 0
	s_sub_co_ci_u32 s15, s15, s21
	s_delay_alu instid0(SALU_CYCLE_1)
	s_cmp_ge_u32 s15, s11
	s_cselect_b32 s16, -1, 0
	s_cmp_ge_u32 s14, s10
	s_cselect_b32 s10, -1, 0
	s_cmp_eq_u32 s15, s11
	s_cselect_b32 s10, s10, s16
	s_delay_alu instid0(SALU_CYCLE_1) | instskip(SKIP_3) | instid1(SALU_CYCLE_1)
	s_cmp_lg_u32 s10, 0
	s_cselect_b32 s11, s22, s19
	s_cselect_b32 s10, s20, s18
	s_xor_b64 s[8:9], s[12:13], s[8:9]
	s_xor_b64 s[10:11], s[10:11], s[8:9]
	s_delay_alu instid0(SALU_CYCLE_1)
	s_sub_nc_u64 s[28:29], s[10:11], s[8:9]
	s_load_b256 s[8:15], s[0:1], 0x0
	s_cbranch_execnz .LBB17_4
.LBB17_3:
	v_cvt_f32_u32_e32 v1, s6
	s_sub_co_i32 s17, 0, s6
	s_mov_b32 s29, 0
	s_delay_alu instid0(VALU_DEP_1) | instskip(NEXT) | instid1(TRANS32_DEP_1)
	v_rcp_iflag_f32_e32 v1, v1
	v_mul_f32_e32 v1, 0x4f7ffffe, v1
	s_delay_alu instid0(VALU_DEP_1) | instskip(NEXT) | instid1(VALU_DEP_1)
	v_cvt_u32_f32_e32 v1, v1
	v_readfirstlane_b32 s16, v1
	s_mul_i32 s17, s17, s16
	s_delay_alu instid0(SALU_CYCLE_1) | instskip(NEXT) | instid1(SALU_CYCLE_1)
	s_mul_hi_u32 s17, s16, s17
	s_add_co_i32 s16, s16, s17
	s_delay_alu instid0(SALU_CYCLE_1) | instskip(NEXT) | instid1(SALU_CYCLE_1)
	s_mul_hi_u32 s16, s4, s16
	s_mul_i32 s17, s16, s6
	s_add_co_i32 s18, s16, 1
	s_sub_co_i32 s17, s4, s17
	s_delay_alu instid0(SALU_CYCLE_1)
	s_sub_co_i32 s19, s17, s6
	s_cmp_ge_u32 s17, s6
	s_cselect_b32 s16, s18, s16
	s_cselect_b32 s17, s19, s17
	s_add_co_i32 s18, s16, 1
	s_cmp_ge_u32 s17, s6
	s_cselect_b32 s28, s18, s16
.LBB17_4:
	s_clause 0x3
	s_load_b128 s[36:39], s[0:1], 0x60
	s_load_b256 s[16:23], s[0:1], 0x28
	s_load_b64 s[26:27], s[0:1], 0x48
	s_load_b32 s40, s[0:1], 0x7c
	s_mul_u64 s[0:1], s[28:29], s[6:7]
	s_wait_kmcnt 0x0
	s_load_b32 s42, s[36:37], 0x0
	s_load_b32 s33, s[38:39], 0x0
	s_mul_u64 s[6:7], s[22:23], s[2:3]
	s_sub_nc_u64 s[0:1], s[4:5], s[0:1]
	s_mul_u64 s[22:23], s[28:29], s[16:17]
	s_mul_u64 s[2:3], s[26:27], s[2:3]
	;; [unrolled: 1-line block ×3, first 2 shown]
	s_add_nc_u64 s[0:1], s[14:15], s[22:23]
	s_wait_alu 0xfffe
	s_lshl_b64 s[34:35], s[6:7], 2
	s_lshl_b64 s[26:27], s[2:3], 2
	s_add_nc_u64 s[2:3], s[12:13], s[22:23]
	s_add_nc_u64 s[28:29], s[0:1], s[18:19]
	s_ashr_i32 s1, s25, 31
	s_mov_b32 s0, s25
	s_and_b32 s6, s40, 0xffff
	s_add_nc_u64 s[30:31], s[8:9], s[34:35]
	s_add_nc_u64 s[16:17], s[10:11], s[26:27]
	;; [unrolled: 1-line block ×3, first 2 shown]
	s_cmp_lg_u64 s[20:21], s[0:1]
	s_mov_b32 s0, -1
	s_cbranch_scc0 .LBB17_39
; %bb.5:
	v_lshrrev_b32_e32 v24, 5, v0
	s_mov_b32 s5, exec_lo
	s_delay_alu instid0(VALU_DEP_1)
	v_cmpx_gt_i32_e64 s24, v24
	s_cbranch_execz .LBB17_38
; %bb.6:
	s_add_nc_u64 s[0:1], s[18:19], s[22:23]
	v_and_b32_e32 v25, 31, v0
	v_mad_co_u64_u32 v[1:2], null, s20, v24, s[0:1]
	s_and_b32 s0, s25, 3
	s_wait_alu 0xfffe
	s_lshr_b32 s38, s6, 5
	s_cmp_eq_u32 s0, 0
	v_mul_lo_u32 v5, s25, v24
	s_cselect_b32 s1, -1, 0
	s_ashr_i32 s7, s25, 2
	v_dual_mov_b32 v3, v2 :: v_dual_mov_b32 v2, 0
	v_lshlrev_b32_e32 v38, 2, v25
	v_lshlrev_b32_e32 v9, 4, v25
	s_wait_alu 0xfffe
	v_cmp_gt_i32_e64 s0, s7, v25
	v_mad_co_u64_u32 v[6:7], null, s21, v24, v[3:4]
	v_lshlrev_b32_e32 v3, 2, v25
	v_add_co_u32 v26, s2, s30, v9
	s_delay_alu instid0(VALU_DEP_1) | instskip(NEXT) | instid1(VALU_DEP_3)
	v_add_co_ci_u32_e64 v27, null, s31, 0, s2
	v_add_co_u32 v7, vcc_lo, v1, v3
	s_delay_alu instid0(VALU_DEP_1) | instskip(SKIP_1) | instid1(VALU_DEP_3)
	v_add_co_ci_u32_e64 v8, null, 0, v6, vcc_lo
	v_add_co_u32 v32, s2, s16, v9
	v_add_co_u32 v3, vcc_lo, s12, v7
	s_wait_alu 0xfffd
	s_delay_alu instid0(VALU_DEP_3)
	v_add_co_ci_u32_e64 v4, null, s13, v8, vcc_lo
	v_add_co_u32 v28, vcc_lo, s12, v1
	s_wait_alu 0xfffd
	v_add_co_ci_u32_e64 v29, null, s13, v6, vcc_lo
	v_add_co_u32 v30, vcc_lo, v26, 8
	s_wait_alu 0xfffd
	;; [unrolled: 3-line block ×3, first 2 shown]
	v_add_co_ci_u32_e64 v33, null, s17, 0, s2
	s_wait_alu 0xfffd
	v_add_co_ci_u32_e64 v8, null, s15, v8, vcc_lo
	v_add_co_u32 v34, vcc_lo, s14, v1
	s_wait_alu 0xfffd
	v_add_co_ci_u32_e64 v35, null, s15, v6, vcc_lo
	v_add_co_u32 v36, vcc_lo, v32, 8
	s_wait_alu 0xfffd
	v_add_co_ci_u32_e64 v37, null, 0, v33, vcc_lo
	s_mov_b32 s39, 0
	s_mul_i32 s43, s25, s38
	s_mul_u64 s[40:41], s[20:21], s[38:39]
	s_xor_b32 s44, s1, -1
	s_mov_b32 s45, 0x43e00000
	s_branch .LBB17_9
.LBB17_7:                               ;   in Loop: Header=BB17_9 Depth=1
	s_or_b32 exec_lo, exec_lo, s47
.LBB17_8:                               ;   in Loop: Header=BB17_9 Depth=1
	s_delay_alu instid0(SALU_CYCLE_1)
	s_or_b32 exec_lo, exec_lo, s46
	v_add_co_u32 v3, vcc_lo, v3, s40
	v_add_nc_u32_e32 v24, s38, v24
	s_wait_alu 0xfffd
	v_add_co_ci_u32_e64 v4, null, s41, v4, vcc_lo
	v_add_co_u32 v28, vcc_lo, v28, s40
	s_wait_alu 0xfffd
	v_add_co_ci_u32_e64 v29, null, s41, v29, vcc_lo
	v_add_co_u32 v7, vcc_lo, v7, s40
	s_wait_alu 0xfffd
	v_add_co_ci_u32_e64 v8, null, s41, v8, vcc_lo
	v_cmp_le_i32_e32 vcc_lo, s24, v24
	v_add_co_u32 v34, s1, v34, s40
	v_add_nc_u32_e32 v5, s43, v5
	s_wait_alu 0xf1ff
	v_add_co_ci_u32_e64 v35, null, s41, v35, s1
	s_or_b32 s39, vcc_lo, s39
	s_wait_alu 0xfffe
	s_and_not1_b32 exec_lo, exec_lo, s39
	s_cbranch_execz .LBB17_38
.LBB17_9:                               ; =>This Loop Header: Depth=1
                                        ;     Child Loop BB17_14 Depth 2
                                        ;     Child Loop BB17_17 Depth 2
	;; [unrolled: 1-line block ×6, first 2 shown]
	v_mul_lo_u32 v9, v24, s25
	v_mad_co_u64_u32 v[11:12], null, s20, v24, 0
	v_ashrrev_i32_e32 v6, 31, v5
	s_delay_alu instid0(VALU_DEP_3) | instskip(NEXT) | instid1(VALU_DEP_1)
	v_ashrrev_i32_e32 v10, 31, v9
	v_lshlrev_b64_e32 v[14:15], 2, v[9:10]
	s_delay_alu instid0(VALU_DEP_4) | instskip(NEXT) | instid1(VALU_DEP_1)
	v_mov_b32_e32 v9, v12
	v_mad_co_u64_u32 v[12:13], null, s21, v24, v[9:10]
	s_delay_alu instid0(VALU_DEP_3) | instskip(SKIP_1) | instid1(VALU_DEP_4)
	v_add_co_u32 v17, vcc_lo, s30, v14
	s_wait_alu 0xfffd
	v_add_co_ci_u32_e64 v18, null, s31, v15, vcc_lo
	v_lshlrev_b64_e32 v[9:10], 2, v[5:6]
	s_delay_alu instid0(VALU_DEP_3) | instskip(NEXT) | instid1(VALU_DEP_1)
	v_and_b32_e32 v1, 15, v17
	v_cmp_ne_u64_e32 vcc_lo, 0, v[1:2]
	s_or_b32 s1, s44, vcc_lo
	s_wait_alu 0xfffe
	s_and_saveexec_b32 s2, s1
	s_wait_alu 0xfffe
	s_xor_b32 s46, exec_lo, s2
	s_cbranch_execz .LBB17_19
; %bb.10:                               ;   in Loop: Header=BB17_9 Depth=1
	v_sub_nc_u32_e32 v1, 0, v17
	s_mov_b32 s1, exec_lo
	s_delay_alu instid0(VALU_DEP_1) | instskip(NEXT) | instid1(VALU_DEP_1)
	v_bfe_u32 v1, v1, 2, 2
	v_min_i32_e32 v16, s25, v1
	s_delay_alu instid0(VALU_DEP_1)
	v_cmpx_lt_i32_e64 v25, v16
	s_cbranch_execz .LBB17_12
; %bb.11:                               ;   in Loop: Header=BB17_9 Depth=1
	v_add_co_u32 v17, vcc_lo, v17, v38
	s_wait_alu 0xfffd
	v_add_co_ci_u32_e64 v18, null, 0, v18, vcc_lo
	global_load_b32 v1, v[17:18], off
	s_wait_loadcnt 0x0
	s_wait_kmcnt 0x0
	v_div_scale_f32 v6, null, s42, s42, v1
	v_div_scale_f32 v18, vcc_lo, v1, s42, v1
	s_delay_alu instid0(VALU_DEP_2) | instskip(NEXT) | instid1(TRANS32_DEP_1)
	v_rcp_f32_e32 v13, v6
	v_fma_f32 v17, -v6, v13, 1.0
	s_delay_alu instid0(VALU_DEP_1) | instskip(NEXT) | instid1(VALU_DEP_1)
	v_fmac_f32_e32 v13, v17, v13
	v_mul_f32_e32 v17, v18, v13
	s_delay_alu instid0(VALU_DEP_1) | instskip(NEXT) | instid1(VALU_DEP_1)
	v_fma_f32 v19, -v6, v17, v18
	v_fmac_f32_e32 v17, v19, v13
	s_delay_alu instid0(VALU_DEP_1) | instskip(SKIP_1) | instid1(VALU_DEP_1)
	v_fma_f32 v6, -v6, v17, v18
	s_wait_alu 0xfffd
	v_div_fmas_f32 v6, v6, v13, v17
	v_add_co_u32 v13, vcc_lo, s36, v11
	s_wait_alu 0xfffd
	v_add_co_ci_u32_e64 v18, null, s37, v12, vcc_lo
	s_delay_alu instid0(VALU_DEP_3) | instskip(NEXT) | instid1(VALU_DEP_1)
	v_div_fixup_f32 v1, v6, s42, v1
	v_med3_num_f32 v6, v1, s45, 0xc3e00000
	v_cmp_nlg_f32_e64 vcc_lo, 0x7f800000, |v1|
	s_wait_alu 0xfffd
	s_delay_alu instid0(VALU_DEP_2) | instskip(SKIP_4) | instid1(VALU_DEP_3)
	v_cndmask_b32_e32 v1, v6, v1, vcc_lo
	v_mov_b32_e32 v6, v2
	v_add_co_u32 v17, vcc_lo, v13, v25
	s_wait_alu 0xfffd
	v_add_co_ci_u32_e64 v18, null, 0, v18, vcc_lo
	v_cvt_pk_fp8_f32 v6, v1, v1
	global_store_b8 v[17:18], v6, off
.LBB17_12:                              ;   in Loop: Header=BB17_9 Depth=1
	s_wait_alu 0xfffe
	s_or_b32 exec_lo, exec_lo, s1
	v_sub_nc_u32_e32 v1, s25, v16
	v_ashrrev_i32_e32 v17, 31, v16
	s_mov_b32 s47, exec_lo
	s_delay_alu instid0(VALU_DEP_2) | instskip(NEXT) | instid1(VALU_DEP_2)
	v_ashrrev_i32_e32 v6, 31, v1
	v_lshlrev_b64_e32 v[18:19], 2, v[16:17]
	s_delay_alu instid0(VALU_DEP_2) | instskip(NEXT) | instid1(VALU_DEP_1)
	v_lshrrev_b32_e32 v6, 30, v6
	v_add_nc_u32_e32 v6, v1, v6
	s_delay_alu instid0(VALU_DEP_1) | instskip(NEXT) | instid1(VALU_DEP_1)
	v_ashrrev_i32_e32 v6, 2, v6
	v_cmpx_lt_i32_e64 v25, v6
	s_cbranch_execz .LBB17_15
; %bb.13:                               ;   in Loop: Header=BB17_9 Depth=1
	v_add_co_u32 v13, vcc_lo, v18, v9
	s_wait_alu 0xfffd
	v_add_co_ci_u32_e64 v23, null, v19, v10, vcc_lo
	v_add_co_u32 v20, vcc_lo, v3, v16
	s_wait_alu 0xfffd
	v_add_co_ci_u32_e64 v21, null, v4, v17, vcc_lo
	;; [unrolled: 3-line block ×3, first 2 shown]
	v_mov_b32_e32 v13, v25
	s_mov_b32 s48, 0
.LBB17_14:                              ;   Parent Loop BB17_9 Depth=1
                                        ; =>  This Inner Loop Header: Depth=2
	global_load_b128 v[39:42], v[22:23], off
	v_add_co_u32 v22, vcc_lo, 0x200, v22
	s_wait_alu 0xfffd
	v_add_co_ci_u32_e64 v23, null, 0, v23, vcc_lo
	v_dual_mov_b32 v43, 0 :: v_dual_mov_b32 v44, 0
	v_dual_mov_b32 v45, 0 :: v_dual_mov_b32 v46, 0
	s_wait_loadcnt 0x0
	s_wait_kmcnt 0x0
	v_div_scale_f32 v47, null, s42, s42, v39
	v_div_scale_f32 v53, null, s42, s42, v42
	;; [unrolled: 1-line block ×4, first 2 shown]
	s_delay_alu instid0(VALU_DEP_4) | instskip(NEXT) | instid1(VALU_DEP_3)
	v_rcp_f32_e32 v55, v47
	v_rcp_f32_e32 v58, v53
	s_delay_alu instid0(VALU_DEP_2) | instskip(NEXT) | instid1(VALU_DEP_1)
	v_rcp_f32_e32 v56, v49
	v_rcp_f32_e32 v57, v51
	v_div_scale_f32 v48, vcc_lo, v39, s42, v39
	v_div_scale_f32 v54, s4, v42, s42, v42
	v_div_scale_f32 v50, s2, v40, s42, v40
	v_fma_f32 v59, -v47, v55, 1.0
	s_delay_alu instid0(TRANS32_DEP_3) | instskip(NEXT) | instid1(TRANS32_DEP_2)
	v_fma_f32 v62, -v53, v58, 1.0
	v_fma_f32 v60, -v49, v56, 1.0
	s_delay_alu instid0(TRANS32_DEP_1) | instskip(SKIP_1) | instid1(VALU_DEP_4)
	v_fma_f32 v61, -v51, v57, 1.0
	v_add_nc_u32_e32 v13, 32, v13
	v_dual_fmac_f32 v55, v59, v55 :: v_dual_fmac_f32 v58, v62, v58
	s_delay_alu instid0(VALU_DEP_4) | instskip(SKIP_2) | instid1(VALU_DEP_4)
	v_fmac_f32_e32 v56, v60, v56
	v_div_scale_f32 v52, s3, v41, s42, v41
	v_fmac_f32_e32 v57, v61, v57
	v_dual_mul_f32 v59, v48, v55 :: v_dual_mul_f32 v62, v54, v58
	s_delay_alu instid0(VALU_DEP_4) | instskip(SKIP_1) | instid1(VALU_DEP_3)
	v_mul_f32_e32 v60, v50, v56
	v_cmp_ge_i32_e64 s1, v13, v6
	v_fma_f32 v63, -v47, v59, v48
	s_delay_alu instid0(VALU_DEP_4) | instskip(SKIP_3) | instid1(VALU_DEP_3)
	v_fma_f32 v66, -v53, v62, v54
	v_mul_f32_e32 v61, v52, v57
	v_fma_f32 v64, -v49, v60, v50
	s_or_b32 s48, s1, s48
	v_dual_fmac_f32 v59, v63, v55 :: v_dual_fmac_f32 v62, v66, v58
	s_delay_alu instid0(VALU_DEP_3) | instskip(NEXT) | instid1(VALU_DEP_3)
	v_fma_f32 v65, -v51, v61, v52
	v_fmac_f32_e32 v60, v64, v56
	s_delay_alu instid0(VALU_DEP_3) | instskip(NEXT) | instid1(VALU_DEP_3)
	v_fma_f32 v47, -v47, v59, v48
	v_fmac_f32_e32 v61, v65, v57
	s_delay_alu instid0(VALU_DEP_3)
	v_fma_f32 v48, -v49, v60, v50
	v_fma_f32 v50, -v53, v62, v54
	s_wait_alu 0xfffd
	v_div_fmas_f32 v47, v47, v55, v59
	s_mov_b32 vcc_lo, s2
	v_fma_f32 v49, -v51, v61, v52
	s_wait_alu 0xfffe
	v_div_fmas_f32 v48, v48, v56, v60
	s_mov_b32 vcc_lo, s3
	v_div_fixup_f32 v39, v47, s42, v39
	s_wait_alu 0xfffe
	v_div_fmas_f32 v49, v49, v57, v61
	s_mov_b32 vcc_lo, s4
	v_div_fixup_f32 v40, v48, s42, v40
	s_wait_alu 0xfffe
	v_div_fmas_f32 v47, v50, v58, v62
	v_med3_num_f32 v48, v39, s45, 0xc3e00000
	v_div_fixup_f32 v41, v49, s42, v41
	v_cmp_nlg_f32_e64 vcc_lo, 0x7f800000, |v39|
	v_cmp_nlg_f32_e64 s2, 0x7f800000, |v40|
	v_div_fixup_f32 v42, v47, s42, v42
	v_med3_num_f32 v47, v40, s45, 0xc3e00000
	v_med3_num_f32 v49, v41, s45, 0xc3e00000
	v_cmp_nlg_f32_e64 s3, 0x7f800000, |v41|
	s_wait_alu 0xfffd
	v_cndmask_b32_e32 v39, v48, v39, vcc_lo
	v_med3_num_f32 v48, v42, s45, 0xc3e00000
	v_cmp_nlg_f32_e64 vcc_lo, 0x7f800000, |v42|
	s_wait_alu 0xf1ff
	v_cndmask_b32_e64 v40, v47, v40, s2
	v_cndmask_b32_e64 v41, v49, v41, s3
	v_cvt_pk_fp8_f32 v43, v39, v39
	s_wait_alu 0xfffd
	v_cndmask_b32_e32 v39, v48, v42, vcc_lo
	v_cvt_pk_fp8_f32 v44, v40, v40
	v_cvt_pk_fp8_f32 v45, v41, v41
	v_and_b32_e32 v40, 0xff, v43
	s_delay_alu instid0(VALU_DEP_4) | instskip(NEXT) | instid1(VALU_DEP_4)
	v_cvt_pk_fp8_f32 v46, v39, v39
	v_lshlrev_b32_e32 v39, 8, v44
	s_delay_alu instid0(VALU_DEP_4) | instskip(NEXT) | instid1(VALU_DEP_2)
	v_lshlrev_b32_e32 v41, 16, v45
	v_and_b32_e32 v39, 0xff00, v39
	s_delay_alu instid0(VALU_DEP_2) | instskip(NEXT) | instid1(VALU_DEP_1)
	v_perm_b32 v41, v46, v41, 0x4020c0c
	v_or3_b32 v39, v41, v39, v40
	global_store_b32 v[20:21], v39, off
	v_add_co_u32 v20, vcc_lo, 0x80, v20
	s_wait_alu 0xfffd
	v_add_co_ci_u32_e64 v21, null, 0, v21, vcc_lo
	s_and_not1_b32 exec_lo, exec_lo, s48
	s_cbranch_execnz .LBB17_14
.LBB17_15:                              ;   in Loop: Header=BB17_9 Depth=1
	s_or_b32 exec_lo, exec_lo, s47
	v_lshl_add_u32 v20, v6, 2, v25
	s_mov_b32 s2, exec_lo
	s_delay_alu instid0(VALU_DEP_1)
	v_cmpx_lt_i32_e64 v20, v1
	s_cbranch_execz .LBB17_18
; %bb.16:                               ;   in Loop: Header=BB17_9 Depth=1
	v_ashrrev_i32_e32 v21, 31, v20
	v_add_co_u32 v6, vcc_lo, v18, v9
	s_wait_alu 0xfffd
	v_add_co_ci_u32_e64 v13, null, v19, v10, vcc_lo
	s_delay_alu instid0(VALU_DEP_3) | instskip(SKIP_1) | instid1(VALU_DEP_1)
	v_lshlrev_b64_e32 v[22:23], 2, v[20:21]
	s_mov_b32 s3, 0
	v_add_co_u32 v6, vcc_lo, v6, v22
	s_wait_alu 0xfffd
	s_delay_alu instid0(VALU_DEP_2)
	v_add_co_ci_u32_e64 v13, null, v13, v23, vcc_lo
	v_add_co_u32 v18, vcc_lo, v16, v20
	s_wait_alu 0xfffd
	v_add_co_ci_u32_e64 v19, null, v17, v21, vcc_lo
	v_add_co_u32 v16, vcc_lo, s30, v6
	s_wait_alu 0xfffd
	;; [unrolled: 3-line block ×3, first 2 shown]
	v_add_co_ci_u32_e64 v19, null, v29, v19, vcc_lo
.LBB17_17:                              ;   Parent Loop BB17_9 Depth=1
                                        ; =>  This Inner Loop Header: Depth=2
	global_load_b32 v6, v[16:17], off
	v_add_co_u32 v16, vcc_lo, 0x80, v16
	s_wait_alu 0xfffd
	v_add_co_ci_u32_e64 v17, null, 0, v17, vcc_lo
	v_dual_mov_b32 v13, 0 :: v_dual_add_nc_u32 v20, 32, v20
	s_delay_alu instid0(VALU_DEP_1)
	v_cmp_ge_i32_e64 s1, v20, v1
	s_wait_alu 0xfffe
	s_or_b32 s3, s1, s3
	s_wait_loadcnt 0x0
	s_wait_kmcnt 0x0
	v_div_scale_f32 v21, null, s42, s42, v6
	v_div_scale_f32 v23, vcc_lo, v6, s42, v6
	s_delay_alu instid0(VALU_DEP_2) | instskip(NEXT) | instid1(TRANS32_DEP_1)
	v_rcp_f32_e32 v22, v21
	v_fma_f32 v39, -v21, v22, 1.0
	s_delay_alu instid0(VALU_DEP_1) | instskip(NEXT) | instid1(VALU_DEP_1)
	v_fmac_f32_e32 v22, v39, v22
	v_mul_f32_e32 v39, v23, v22
	s_delay_alu instid0(VALU_DEP_1) | instskip(NEXT) | instid1(VALU_DEP_1)
	v_fma_f32 v40, -v21, v39, v23
	v_fmac_f32_e32 v39, v40, v22
	s_delay_alu instid0(VALU_DEP_1) | instskip(SKIP_1) | instid1(VALU_DEP_1)
	v_fma_f32 v21, -v21, v39, v23
	s_wait_alu 0xfffd
	v_div_fmas_f32 v21, v21, v22, v39
	s_delay_alu instid0(VALU_DEP_1) | instskip(NEXT) | instid1(VALU_DEP_1)
	v_div_fixup_f32 v6, v21, s42, v6
	v_med3_num_f32 v21, v6, s45, 0xc3e00000
	v_cmp_nlg_f32_e64 vcc_lo, 0x7f800000, |v6|
	s_wait_alu 0xfffd
	s_delay_alu instid0(VALU_DEP_2) | instskip(NEXT) | instid1(VALU_DEP_1)
	v_cndmask_b32_e32 v6, v21, v6, vcc_lo
	v_cvt_pk_fp8_f32 v13, v6, v6
	global_store_b8 v[18:19], v13, off
	v_add_co_u32 v18, vcc_lo, v18, 32
	s_wait_alu 0xfffd
	v_add_co_ci_u32_e64 v19, null, 0, v19, vcc_lo
	s_wait_alu 0xfffe
	s_and_not1_b32 exec_lo, exec_lo, s3
	s_cbranch_execnz .LBB17_17
.LBB17_18:                              ;   in Loop: Header=BB17_9 Depth=1
	s_wait_alu 0xfffe
	s_or_b32 exec_lo, exec_lo, s2
.LBB17_19:                              ;   in Loop: Header=BB17_9 Depth=1
	s_and_not1_saveexec_b32 s46, s46
	s_cbranch_execz .LBB17_24
; %bb.20:                               ;   in Loop: Header=BB17_9 Depth=1
	s_and_saveexec_b32 s47, s0
	s_cbranch_execz .LBB17_23
; %bb.21:                               ;   in Loop: Header=BB17_9 Depth=1
	v_add_co_u32 v16, vcc_lo, v30, v9
	s_wait_alu 0xfffd
	v_add_co_ci_u32_e64 v17, null, v31, v10, vcc_lo
	v_dual_mov_b32 v19, v4 :: v_dual_mov_b32 v18, v3
	v_mov_b32_e32 v1, v25
	s_mov_b32 s48, 0
.LBB17_22:                              ;   Parent Loop BB17_9 Depth=1
                                        ; =>  This Inner Loop Header: Depth=2
	global_load_b128 v[20:23], v[16:17], off offset:-8
	v_add_co_u32 v16, vcc_lo, 0x200, v16
	s_wait_alu 0xfffd
	v_add_co_ci_u32_e64 v17, null, 0, v17, vcc_lo
	v_dual_mov_b32 v6, 0 :: v_dual_mov_b32 v13, 0
	v_dual_mov_b32 v39, 0 :: v_dual_mov_b32 v40, 0
	s_wait_loadcnt 0x0
	s_wait_kmcnt 0x0
	v_div_scale_f32 v41, null, s42, s42, v20
	v_div_scale_f32 v43, null, s42, s42, v21
	;; [unrolled: 1-line block ×3, first 2 shown]
	s_delay_alu instid0(VALU_DEP_3) | instskip(SKIP_1) | instid1(VALU_DEP_3)
	v_rcp_f32_e32 v49, v41
	v_div_scale_f32 v45, null, s42, s42, v22
	v_rcp_f32_e32 v50, v43
	s_delay_alu instid0(VALU_DEP_2) | instskip(SKIP_1) | instid1(VALU_DEP_2)
	v_rcp_f32_e32 v52, v47
	v_div_scale_f32 v42, vcc_lo, v20, s42, v20
	v_rcp_f32_e32 v51, v45
	v_div_scale_f32 v44, s2, v21, s42, v21
	v_fma_f32 v53, -v41, v49, 1.0
	v_div_scale_f32 v48, s4, v23, s42, v23
	s_delay_alu instid0(TRANS32_DEP_3) | instskip(NEXT) | instid1(TRANS32_DEP_2)
	v_fma_f32 v54, -v43, v50, 1.0
	v_fma_f32 v56, -v47, v52, 1.0
	s_delay_alu instid0(VALU_DEP_4) | instskip(SKIP_1) | instid1(TRANS32_DEP_1)
	v_fmac_f32_e32 v49, v53, v49
	v_add_nc_u32_e32 v1, 32, v1
	v_fma_f32 v55, -v45, v51, 1.0
	v_fmac_f32_e32 v50, v54, v50
	s_delay_alu instid0(VALU_DEP_4) | instskip(SKIP_1) | instid1(VALU_DEP_3)
	v_dual_fmac_f32 v52, v56, v52 :: v_dual_mul_f32 v53, v42, v49
	v_div_scale_f32 v46, s3, v22, s42, v22
	v_dual_fmac_f32 v51, v55, v51 :: v_dual_mul_f32 v54, v44, v50
	s_delay_alu instid0(VALU_DEP_3) | instskip(NEXT) | instid1(VALU_DEP_4)
	v_mul_f32_e32 v56, v48, v52
	v_fma_f32 v57, -v41, v53, v42
	v_cmp_le_i32_e64 s1, s7, v1
	s_delay_alu instid0(VALU_DEP_4) | instskip(NEXT) | instid1(VALU_DEP_4)
	v_fma_f32 v58, -v43, v54, v44
	v_fma_f32 v60, -v47, v56, v48
	s_delay_alu instid0(VALU_DEP_4)
	v_fmac_f32_e32 v53, v57, v49
	v_mul_f32_e32 v55, v46, v51
	s_or_b32 s48, s1, s48
	v_fmac_f32_e32 v54, v58, v50
	v_fmac_f32_e32 v56, v60, v52
	v_fma_f32 v41, -v41, v53, v42
	v_fma_f32 v59, -v45, v55, v46
	s_delay_alu instid0(VALU_DEP_4) | instskip(NEXT) | instid1(VALU_DEP_4)
	v_fma_f32 v42, -v43, v54, v44
	v_fma_f32 v44, -v47, v56, v48
	s_wait_alu 0xfffd
	v_div_fmas_f32 v41, v41, v49, v53
	s_mov_b32 vcc_lo, s2
	s_wait_alu 0xfffe
	v_div_fmas_f32 v42, v42, v50, v54
	s_mov_b32 vcc_lo, s3
	v_div_fixup_f32 v20, v41, s42, v20
	s_delay_alu instid0(VALU_DEP_2) | instskip(NEXT) | instid1(VALU_DEP_2)
	v_div_fixup_f32 v21, v42, s42, v21
	v_med3_num_f32 v42, v20, s45, 0xc3e00000
	v_fmac_f32_e32 v55, v59, v51
	s_delay_alu instid0(VALU_DEP_3) | instskip(NEXT) | instid1(VALU_DEP_2)
	v_cmp_nlg_f32_e64 s2, 0x7f800000, |v21|
	v_fma_f32 v43, -v45, v55, v46
	s_wait_alu 0xfffe
	s_delay_alu instid0(VALU_DEP_1)
	v_div_fmas_f32 v43, v43, v51, v55
	s_mov_b32 vcc_lo, s4
	s_wait_alu 0xfffe
	v_div_fmas_f32 v41, v44, v52, v56
	v_cmp_nlg_f32_e64 vcc_lo, 0x7f800000, |v20|
	v_div_fixup_f32 v22, v43, s42, v22
	s_delay_alu instid0(VALU_DEP_3) | instskip(SKIP_1) | instid1(VALU_DEP_3)
	v_div_fixup_f32 v23, v41, s42, v23
	v_med3_num_f32 v41, v21, s45, 0xc3e00000
	v_med3_num_f32 v43, v22, s45, 0xc3e00000
	v_cmp_nlg_f32_e64 s3, 0x7f800000, |v22|
	s_wait_alu 0xfffd
	v_cndmask_b32_e32 v20, v42, v20, vcc_lo
	v_med3_num_f32 v42, v23, s45, 0xc3e00000
	v_cmp_nlg_f32_e64 vcc_lo, 0x7f800000, |v23|
	v_cndmask_b32_e64 v21, v41, v21, s2
	s_wait_alu 0xf1ff
	v_cndmask_b32_e64 v22, v43, v22, s3
	v_cvt_pk_fp8_f32 v6, v20, v20
	s_delay_alu instid0(VALU_DEP_3)
	v_cvt_pk_fp8_f32 v13, v21, v21
	s_wait_alu 0xfffd
	v_cndmask_b32_e32 v20, v42, v23, vcc_lo
	v_cvt_pk_fp8_f32 v39, v22, v22
	v_and_b32_e32 v6, 0xff, v6
	v_lshlrev_b32_e32 v13, 8, v13
	s_delay_alu instid0(VALU_DEP_4) | instskip(NEXT) | instid1(VALU_DEP_4)
	v_cvt_pk_fp8_f32 v40, v20, v20
	v_lshlrev_b32_e32 v20, 16, v39
	s_delay_alu instid0(VALU_DEP_3) | instskip(NEXT) | instid1(VALU_DEP_2)
	v_and_b32_e32 v13, 0xff00, v13
	v_perm_b32 v20, v40, v20, 0x4020c0c
	s_delay_alu instid0(VALU_DEP_1)
	v_or3_b32 v6, v20, v13, v6
	global_store_b32 v[18:19], v6, off
	v_add_co_u32 v18, vcc_lo, 0x80, v18
	s_wait_alu 0xfffd
	v_add_co_ci_u32_e64 v19, null, 0, v19, vcc_lo
	s_and_not1_b32 exec_lo, exec_lo, s48
	s_cbranch_execnz .LBB17_22
.LBB17_23:                              ;   in Loop: Header=BB17_9 Depth=1
	s_or_b32 exec_lo, exec_lo, s47
.LBB17_24:                              ;   in Loop: Header=BB17_9 Depth=1
	s_delay_alu instid0(SALU_CYCLE_1) | instskip(SKIP_3) | instid1(VALU_DEP_2)
	s_or_b32 exec_lo, exec_lo, s46
	v_add_co_u32 v6, vcc_lo, s16, v14
	s_wait_alu 0xfffd
	v_add_co_ci_u32_e64 v14, null, s17, v15, vcc_lo
	v_and_b32_e32 v1, 15, v6
	s_delay_alu instid0(VALU_DEP_1)
	v_cmp_ne_u64_e32 vcc_lo, 0, v[1:2]
	s_or_b32 s1, s44, vcc_lo
	s_wait_alu 0xfffe
	s_and_saveexec_b32 s2, s1
	s_wait_alu 0xfffe
	s_xor_b32 s46, exec_lo, s2
	s_cbranch_execz .LBB17_34
; %bb.25:                               ;   in Loop: Header=BB17_9 Depth=1
	v_sub_nc_u32_e32 v1, 0, v6
	s_mov_b32 s1, exec_lo
	s_delay_alu instid0(VALU_DEP_1) | instskip(NEXT) | instid1(VALU_DEP_1)
	v_bfe_u32 v1, v1, 2, 2
	v_min_i32_e32 v13, s25, v1
	s_delay_alu instid0(VALU_DEP_1)
	v_cmpx_lt_i32_e64 v25, v13
	s_cbranch_execz .LBB17_27
; %bb.26:                               ;   in Loop: Header=BB17_9 Depth=1
	v_add_co_u32 v15, vcc_lo, v6, v38
	s_wait_alu 0xfffd
	v_add_co_ci_u32_e64 v16, null, 0, v14, vcc_lo
	global_load_b32 v1, v[15:16], off
	s_wait_loadcnt 0x0
	s_wait_kmcnt 0x0
	v_div_scale_f32 v6, null, s33, s33, v1
	v_div_scale_f32 v16, vcc_lo, v1, s33, v1
	s_delay_alu instid0(VALU_DEP_2) | instskip(NEXT) | instid1(TRANS32_DEP_1)
	v_rcp_f32_e32 v14, v6
	v_fma_f32 v15, -v6, v14, 1.0
	s_delay_alu instid0(VALU_DEP_1) | instskip(NEXT) | instid1(VALU_DEP_1)
	v_fmac_f32_e32 v14, v15, v14
	v_mul_f32_e32 v15, v16, v14
	s_delay_alu instid0(VALU_DEP_1) | instskip(NEXT) | instid1(VALU_DEP_1)
	v_fma_f32 v17, -v6, v15, v16
	v_fmac_f32_e32 v15, v17, v14
	s_delay_alu instid0(VALU_DEP_1) | instskip(SKIP_1) | instid1(VALU_DEP_1)
	v_fma_f32 v6, -v6, v15, v16
	s_wait_alu 0xfffd
	v_div_fmas_f32 v6, v6, v14, v15
	v_add_co_u32 v11, vcc_lo, s28, v11
	s_wait_alu 0xfffd
	v_add_co_ci_u32_e64 v12, null, s29, v12, vcc_lo
	s_delay_alu instid0(VALU_DEP_3) | instskip(NEXT) | instid1(VALU_DEP_1)
	v_div_fixup_f32 v1, v6, s33, v1
	v_med3_num_f32 v6, v1, s45, 0xc3e00000
	v_cmp_nlg_f32_e64 vcc_lo, 0x7f800000, |v1|
	s_wait_alu 0xfffd
	s_delay_alu instid0(VALU_DEP_2) | instskip(SKIP_4) | instid1(VALU_DEP_3)
	v_cndmask_b32_e32 v1, v6, v1, vcc_lo
	v_mov_b32_e32 v6, v2
	v_add_co_u32 v11, vcc_lo, v11, v25
	s_wait_alu 0xfffd
	v_add_co_ci_u32_e64 v12, null, 0, v12, vcc_lo
	v_cvt_pk_fp8_f32 v6, v1, v1
	global_store_b8 v[11:12], v6, off
.LBB17_27:                              ;   in Loop: Header=BB17_9 Depth=1
	s_wait_alu 0xfffe
	s_or_b32 exec_lo, exec_lo, s1
	v_sub_nc_u32_e32 v1, s25, v13
	v_ashrrev_i32_e32 v14, 31, v13
	s_mov_b32 s47, exec_lo
	s_delay_alu instid0(VALU_DEP_2) | instskip(NEXT) | instid1(VALU_DEP_2)
	v_ashrrev_i32_e32 v6, 31, v1
	v_lshlrev_b64_e32 v[11:12], 2, v[13:14]
	s_delay_alu instid0(VALU_DEP_2) | instskip(NEXT) | instid1(VALU_DEP_1)
	v_lshrrev_b32_e32 v6, 30, v6
	v_add_nc_u32_e32 v6, v1, v6
	s_delay_alu instid0(VALU_DEP_1) | instskip(NEXT) | instid1(VALU_DEP_1)
	v_ashrrev_i32_e32 v6, 2, v6
	v_cmpx_lt_i32_e64 v25, v6
	s_cbranch_execz .LBB17_30
; %bb.28:                               ;   in Loop: Header=BB17_9 Depth=1
	v_add_co_u32 v17, vcc_lo, v11, v9
	s_wait_alu 0xfffd
	v_add_co_ci_u32_e64 v18, null, v12, v10, vcc_lo
	v_add_co_u32 v15, vcc_lo, v7, v13
	s_wait_alu 0xfffd
	v_add_co_ci_u32_e64 v16, null, v8, v14, vcc_lo
	;; [unrolled: 3-line block ×3, first 2 shown]
	v_mov_b32_e32 v19, v25
	s_mov_b32 s48, 0
.LBB17_29:                              ;   Parent Loop BB17_9 Depth=1
                                        ; =>  This Inner Loop Header: Depth=2
	global_load_b128 v[20:23], v[17:18], off
	v_add_co_u32 v17, vcc_lo, 0x200, v17
	s_wait_alu 0xfffd
	v_add_co_ci_u32_e64 v18, null, 0, v18, vcc_lo
	v_dual_mov_b32 v39, 0 :: v_dual_mov_b32 v40, 0
	v_dual_mov_b32 v41, 0 :: v_dual_mov_b32 v42, 0
	s_wait_loadcnt 0x0
	s_wait_kmcnt 0x0
	v_div_scale_f32 v43, null, s33, s33, v20
	v_div_scale_f32 v45, null, s33, s33, v21
	;; [unrolled: 1-line block ×3, first 2 shown]
	s_delay_alu instid0(VALU_DEP_3) | instskip(SKIP_1) | instid1(VALU_DEP_3)
	v_rcp_f32_e32 v51, v43
	v_div_scale_f32 v47, null, s33, s33, v22
	v_rcp_f32_e32 v52, v45
	s_delay_alu instid0(VALU_DEP_2) | instskip(SKIP_1) | instid1(VALU_DEP_2)
	v_rcp_f32_e32 v54, v49
	v_div_scale_f32 v44, vcc_lo, v20, s33, v20
	v_rcp_f32_e32 v53, v47
	v_div_scale_f32 v46, s2, v21, s33, v21
	v_fma_f32 v55, -v43, v51, 1.0
	v_div_scale_f32 v50, s4, v23, s33, v23
	s_delay_alu instid0(TRANS32_DEP_3) | instskip(NEXT) | instid1(TRANS32_DEP_2)
	v_fma_f32 v56, -v45, v52, 1.0
	v_fma_f32 v58, -v49, v54, 1.0
	s_delay_alu instid0(VALU_DEP_4) | instskip(SKIP_1) | instid1(TRANS32_DEP_1)
	v_fmac_f32_e32 v51, v55, v51
	v_add_nc_u32_e32 v19, 32, v19
	v_fma_f32 v57, -v47, v53, 1.0
	v_fmac_f32_e32 v52, v56, v52
	s_delay_alu instid0(VALU_DEP_4) | instskip(SKIP_1) | instid1(VALU_DEP_3)
	v_dual_fmac_f32 v54, v58, v54 :: v_dual_mul_f32 v55, v44, v51
	v_div_scale_f32 v48, s3, v22, s33, v22
	v_dual_fmac_f32 v53, v57, v53 :: v_dual_mul_f32 v56, v46, v52
	s_delay_alu instid0(VALU_DEP_3) | instskip(NEXT) | instid1(VALU_DEP_4)
	v_mul_f32_e32 v58, v50, v54
	v_fma_f32 v59, -v43, v55, v44
	v_cmp_ge_i32_e64 s1, v19, v6
	s_delay_alu instid0(VALU_DEP_4) | instskip(NEXT) | instid1(VALU_DEP_4)
	v_fma_f32 v60, -v45, v56, v46
	v_fma_f32 v62, -v49, v58, v50
	s_delay_alu instid0(VALU_DEP_4)
	v_fmac_f32_e32 v55, v59, v51
	v_mul_f32_e32 v57, v48, v53
	s_or_b32 s48, s1, s48
	v_fmac_f32_e32 v56, v60, v52
	v_fmac_f32_e32 v58, v62, v54
	v_fma_f32 v43, -v43, v55, v44
	v_fma_f32 v61, -v47, v57, v48
	s_delay_alu instid0(VALU_DEP_4) | instskip(NEXT) | instid1(VALU_DEP_4)
	v_fma_f32 v44, -v45, v56, v46
	v_fma_f32 v46, -v49, v58, v50
	s_wait_alu 0xfffd
	v_div_fmas_f32 v43, v43, v51, v55
	s_mov_b32 vcc_lo, s2
	s_wait_alu 0xfffe
	v_div_fmas_f32 v44, v44, v52, v56
	s_mov_b32 vcc_lo, s3
	v_div_fixup_f32 v20, v43, s33, v20
	s_delay_alu instid0(VALU_DEP_2) | instskip(NEXT) | instid1(VALU_DEP_2)
	v_div_fixup_f32 v21, v44, s33, v21
	v_med3_num_f32 v44, v20, s45, 0xc3e00000
	v_fmac_f32_e32 v57, v61, v53
	s_delay_alu instid0(VALU_DEP_3) | instskip(NEXT) | instid1(VALU_DEP_2)
	v_cmp_nlg_f32_e64 s2, 0x7f800000, |v21|
	v_fma_f32 v45, -v47, v57, v48
	s_wait_alu 0xfffe
	s_delay_alu instid0(VALU_DEP_1)
	v_div_fmas_f32 v45, v45, v53, v57
	s_mov_b32 vcc_lo, s4
	s_wait_alu 0xfffe
	v_div_fmas_f32 v43, v46, v54, v58
	v_cmp_nlg_f32_e64 vcc_lo, 0x7f800000, |v20|
	v_div_fixup_f32 v22, v45, s33, v22
	s_delay_alu instid0(VALU_DEP_3) | instskip(SKIP_1) | instid1(VALU_DEP_3)
	v_div_fixup_f32 v23, v43, s33, v23
	v_med3_num_f32 v43, v21, s45, 0xc3e00000
	v_med3_num_f32 v45, v22, s45, 0xc3e00000
	v_cmp_nlg_f32_e64 s3, 0x7f800000, |v22|
	s_wait_alu 0xfffd
	v_cndmask_b32_e32 v20, v44, v20, vcc_lo
	v_med3_num_f32 v44, v23, s45, 0xc3e00000
	v_cmp_nlg_f32_e64 vcc_lo, 0x7f800000, |v23|
	v_cndmask_b32_e64 v21, v43, v21, s2
	s_wait_alu 0xf1ff
	v_cndmask_b32_e64 v22, v45, v22, s3
	v_cvt_pk_fp8_f32 v39, v20, v20
	s_wait_alu 0xfffd
	v_cndmask_b32_e32 v20, v44, v23, vcc_lo
	v_cvt_pk_fp8_f32 v40, v21, v21
	v_cvt_pk_fp8_f32 v41, v22, v22
	v_and_b32_e32 v21, 0xff, v39
	s_delay_alu instid0(VALU_DEP_4) | instskip(NEXT) | instid1(VALU_DEP_4)
	v_cvt_pk_fp8_f32 v42, v20, v20
	v_lshlrev_b32_e32 v20, 8, v40
	s_delay_alu instid0(VALU_DEP_4) | instskip(NEXT) | instid1(VALU_DEP_2)
	v_lshlrev_b32_e32 v22, 16, v41
	v_and_b32_e32 v20, 0xff00, v20
	s_delay_alu instid0(VALU_DEP_2) | instskip(NEXT) | instid1(VALU_DEP_1)
	v_perm_b32 v22, v42, v22, 0x4020c0c
	v_or3_b32 v20, v22, v20, v21
	global_store_b32 v[15:16], v20, off
	v_add_co_u32 v15, vcc_lo, 0x80, v15
	s_wait_alu 0xfffd
	v_add_co_ci_u32_e64 v16, null, 0, v16, vcc_lo
	s_and_not1_b32 exec_lo, exec_lo, s48
	s_cbranch_execnz .LBB17_29
.LBB17_30:                              ;   in Loop: Header=BB17_9 Depth=1
	s_or_b32 exec_lo, exec_lo, s47
	v_lshl_add_u32 v15, v6, 2, v25
	s_mov_b32 s2, exec_lo
	s_delay_alu instid0(VALU_DEP_1)
	v_cmpx_lt_i32_e64 v15, v1
	s_cbranch_execz .LBB17_33
; %bb.31:                               ;   in Loop: Header=BB17_9 Depth=1
	v_ashrrev_i32_e32 v16, 31, v15
	v_add_co_u32 v6, vcc_lo, v11, v9
	s_wait_alu 0xfffd
	v_add_co_ci_u32_e64 v9, null, v12, v10, vcc_lo
	s_delay_alu instid0(VALU_DEP_3) | instskip(SKIP_1) | instid1(VALU_DEP_1)
	v_lshlrev_b64_e32 v[17:18], 2, v[15:16]
	s_mov_b32 s3, 0
	v_add_co_u32 v6, vcc_lo, v6, v17
	s_wait_alu 0xfffd
	s_delay_alu instid0(VALU_DEP_2)
	v_add_co_ci_u32_e64 v10, null, v9, v18, vcc_lo
	v_add_co_u32 v11, vcc_lo, v13, v15
	s_wait_alu 0xfffd
	v_add_co_ci_u32_e64 v12, null, v14, v16, vcc_lo
	v_add_co_u32 v9, vcc_lo, s16, v6
	s_wait_alu 0xfffd
	;; [unrolled: 3-line block ×3, first 2 shown]
	v_add_co_ci_u32_e64 v12, null, v35, v12, vcc_lo
.LBB17_32:                              ;   Parent Loop BB17_9 Depth=1
                                        ; =>  This Inner Loop Header: Depth=2
	global_load_b32 v6, v[9:10], off
	v_add_co_u32 v9, vcc_lo, 0x80, v9
	s_wait_alu 0xfffd
	v_add_co_ci_u32_e64 v10, null, 0, v10, vcc_lo
	s_wait_loadcnt 0x0
	s_wait_kmcnt 0x0
	v_div_scale_f32 v14, null, s33, s33, v6
	v_div_scale_f32 v17, vcc_lo, v6, s33, v6
	s_delay_alu instid0(VALU_DEP_2) | instskip(NEXT) | instid1(TRANS32_DEP_1)
	v_rcp_f32_e32 v16, v14
	v_fma_f32 v18, -v14, v16, 1.0
	s_delay_alu instid0(VALU_DEP_1) | instskip(NEXT) | instid1(VALU_DEP_1)
	v_dual_mov_b32 v13, 0 :: v_dual_fmac_f32 v16, v18, v16
	v_dual_mul_f32 v18, v17, v16 :: v_dual_add_nc_u32 v15, 32, v15
	s_delay_alu instid0(VALU_DEP_1) | instskip(NEXT) | instid1(VALU_DEP_2)
	v_cmp_ge_i32_e64 s1, v15, v1
	v_fma_f32 v19, -v14, v18, v17
	s_wait_alu 0xfffe
	s_or_b32 s3, s1, s3
	s_delay_alu instid0(VALU_DEP_1) | instskip(NEXT) | instid1(VALU_DEP_1)
	v_fmac_f32_e32 v18, v19, v16
	v_fma_f32 v14, -v14, v18, v17
	s_wait_alu 0xfffd
	s_delay_alu instid0(VALU_DEP_1) | instskip(NEXT) | instid1(VALU_DEP_1)
	v_div_fmas_f32 v14, v14, v16, v18
	v_div_fixup_f32 v6, v14, s33, v6
	s_delay_alu instid0(VALU_DEP_1) | instskip(SKIP_2) | instid1(VALU_DEP_2)
	v_med3_num_f32 v14, v6, s45, 0xc3e00000
	v_cmp_nlg_f32_e64 vcc_lo, 0x7f800000, |v6|
	s_wait_alu 0xfffd
	v_cndmask_b32_e32 v6, v14, v6, vcc_lo
	s_delay_alu instid0(VALU_DEP_1)
	v_cvt_pk_fp8_f32 v13, v6, v6
	global_store_b8 v[11:12], v13, off
	v_add_co_u32 v11, vcc_lo, v11, 32
	s_wait_alu 0xfffd
	v_add_co_ci_u32_e64 v12, null, 0, v12, vcc_lo
	s_wait_alu 0xfffe
	s_and_not1_b32 exec_lo, exec_lo, s3
	s_cbranch_execnz .LBB17_32
.LBB17_33:                              ;   in Loop: Header=BB17_9 Depth=1
	s_wait_alu 0xfffe
	s_or_b32 exec_lo, exec_lo, s2
                                        ; implicit-def: $vgpr9_vgpr10
.LBB17_34:                              ;   in Loop: Header=BB17_9 Depth=1
	s_and_not1_saveexec_b32 s46, s46
	s_cbranch_execz .LBB17_8
; %bb.35:                               ;   in Loop: Header=BB17_9 Depth=1
	s_and_saveexec_b32 s47, s0
	s_cbranch_execz .LBB17_7
; %bb.36:                               ;   in Loop: Header=BB17_9 Depth=1
	v_add_co_u32 v9, vcc_lo, v36, v9
	s_wait_alu 0xfffd
	v_add_co_ci_u32_e64 v10, null, v37, v10, vcc_lo
	v_dual_mov_b32 v12, v8 :: v_dual_mov_b32 v11, v7
	v_mov_b32_e32 v1, v25
	s_mov_b32 s48, 0
.LBB17_37:                              ;   Parent Loop BB17_9 Depth=1
                                        ; =>  This Inner Loop Header: Depth=2
	global_load_b128 v[13:16], v[9:10], off offset:-8
	v_add_co_u32 v9, vcc_lo, 0x200, v9
	s_wait_alu 0xfffd
	v_add_co_ci_u32_e64 v10, null, 0, v10, vcc_lo
	v_dual_mov_b32 v18, 0 :: v_dual_mov_b32 v19, 0
	v_dual_mov_b32 v6, 0 :: v_dual_mov_b32 v17, 0
	s_wait_loadcnt 0x0
	s_wait_kmcnt 0x0
	v_div_scale_f32 v20, null, s33, s33, v13
	v_div_scale_f32 v41, null, s33, s33, v16
	;; [unrolled: 1-line block ×4, first 2 shown]
	s_delay_alu instid0(VALU_DEP_4) | instskip(NEXT) | instid1(VALU_DEP_3)
	v_rcp_f32_e32 v43, v20
	v_rcp_f32_e32 v46, v41
	s_delay_alu instid0(VALU_DEP_2) | instskip(NEXT) | instid1(VALU_DEP_1)
	v_rcp_f32_e32 v44, v22
	v_rcp_f32_e32 v45, v39
	v_div_scale_f32 v21, vcc_lo, v13, s33, v13
	v_div_scale_f32 v42, s4, v16, s33, v16
	v_div_scale_f32 v23, s2, v14, s33, v14
	v_fma_f32 v47, -v20, v43, 1.0
	s_delay_alu instid0(TRANS32_DEP_3) | instskip(NEXT) | instid1(TRANS32_DEP_2)
	v_fma_f32 v50, -v41, v46, 1.0
	v_fma_f32 v48, -v22, v44, 1.0
	s_delay_alu instid0(TRANS32_DEP_1) | instskip(SKIP_1) | instid1(VALU_DEP_4)
	v_fma_f32 v49, -v39, v45, 1.0
	v_add_nc_u32_e32 v1, 32, v1
	v_dual_fmac_f32 v43, v47, v43 :: v_dual_fmac_f32 v46, v50, v46
	s_delay_alu instid0(VALU_DEP_4) | instskip(SKIP_2) | instid1(VALU_DEP_4)
	v_fmac_f32_e32 v44, v48, v44
	v_div_scale_f32 v40, s3, v15, s33, v15
	v_fmac_f32_e32 v45, v49, v45
	v_dual_mul_f32 v47, v21, v43 :: v_dual_mul_f32 v50, v42, v46
	s_delay_alu instid0(VALU_DEP_4) | instskip(SKIP_1) | instid1(VALU_DEP_3)
	v_mul_f32_e32 v48, v23, v44
	v_cmp_le_i32_e64 s1, s7, v1
	v_fma_f32 v51, -v20, v47, v21
	s_delay_alu instid0(VALU_DEP_4) | instskip(SKIP_3) | instid1(VALU_DEP_3)
	v_fma_f32 v54, -v41, v50, v42
	v_mul_f32_e32 v49, v40, v45
	v_fma_f32 v52, -v22, v48, v23
	s_or_b32 s48, s1, s48
	v_dual_fmac_f32 v47, v51, v43 :: v_dual_fmac_f32 v50, v54, v46
	s_delay_alu instid0(VALU_DEP_3) | instskip(NEXT) | instid1(VALU_DEP_3)
	v_fma_f32 v53, -v39, v49, v40
	v_fmac_f32_e32 v48, v52, v44
	s_delay_alu instid0(VALU_DEP_3) | instskip(NEXT) | instid1(VALU_DEP_3)
	v_fma_f32 v20, -v20, v47, v21
	v_fmac_f32_e32 v49, v53, v45
	s_delay_alu instid0(VALU_DEP_3)
	v_fma_f32 v21, -v22, v48, v23
	v_fma_f32 v23, -v41, v50, v42
	s_wait_alu 0xfffd
	v_div_fmas_f32 v20, v20, v43, v47
	s_mov_b32 vcc_lo, s2
	v_fma_f32 v22, -v39, v49, v40
	s_wait_alu 0xfffe
	v_div_fmas_f32 v21, v21, v44, v48
	s_mov_b32 vcc_lo, s3
	v_div_fixup_f32 v13, v20, s33, v13
	s_wait_alu 0xfffe
	v_div_fmas_f32 v22, v22, v45, v49
	s_mov_b32 vcc_lo, s4
	v_div_fixup_f32 v14, v21, s33, v14
	s_wait_alu 0xfffe
	v_div_fmas_f32 v20, v23, v46, v50
	v_med3_num_f32 v21, v13, s45, 0xc3e00000
	v_div_fixup_f32 v15, v22, s33, v15
	v_cmp_nlg_f32_e64 vcc_lo, 0x7f800000, |v13|
	v_cmp_nlg_f32_e64 s2, 0x7f800000, |v14|
	v_div_fixup_f32 v16, v20, s33, v16
	v_med3_num_f32 v20, v14, s45, 0xc3e00000
	v_med3_num_f32 v22, v15, s45, 0xc3e00000
	v_cmp_nlg_f32_e64 s3, 0x7f800000, |v15|
	s_wait_alu 0xf1ff
	s_delay_alu instid0(VALU_DEP_3) | instskip(NEXT) | instid1(VALU_DEP_2)
	v_cndmask_b32_e64 v14, v20, v14, s2
	v_cndmask_b32_e64 v15, v22, v15, s3
	s_delay_alu instid0(VALU_DEP_2) | instskip(NEXT) | instid1(VALU_DEP_2)
	v_cvt_pk_fp8_f32 v17, v14, v14
	v_cvt_pk_fp8_f32 v18, v15, v15
	s_wait_alu 0xfffd
	v_cndmask_b32_e32 v13, v21, v13, vcc_lo
	v_med3_num_f32 v21, v16, s45, 0xc3e00000
	v_cmp_nlg_f32_e64 vcc_lo, 0x7f800000, |v16|
	v_lshlrev_b32_e32 v14, 16, v18
	s_delay_alu instid0(VALU_DEP_4) | instskip(SKIP_1) | instid1(VALU_DEP_1)
	v_cvt_pk_fp8_f32 v6, v13, v13
	s_wait_alu 0xfffd
	v_dual_cndmask_b32 v13, v21, v16 :: v_dual_and_b32 v6, 0xff, v6
	s_delay_alu instid0(VALU_DEP_1) | instskip(SKIP_1) | instid1(VALU_DEP_2)
	v_cvt_pk_fp8_f32 v19, v13, v13
	v_lshlrev_b32_e32 v13, 8, v17
	v_perm_b32 v14, v19, v14, 0x4020c0c
	s_delay_alu instid0(VALU_DEP_2) | instskip(NEXT) | instid1(VALU_DEP_1)
	v_and_b32_e32 v13, 0xff00, v13
	v_or3_b32 v6, v14, v13, v6
	global_store_b32 v[11:12], v6, off
	v_add_co_u32 v11, vcc_lo, 0x80, v11
	s_wait_alu 0xfffd
	v_add_co_ci_u32_e64 v12, null, 0, v12, vcc_lo
	s_and_not1_b32 exec_lo, exec_lo, s48
	s_cbranch_execnz .LBB17_37
	s_branch .LBB17_7
.LBB17_38:
	s_wait_alu 0xfffe
	s_or_b32 exec_lo, exec_lo, s5
	s_mov_b32 s0, 0
.LBB17_39:
	s_wait_alu 0xfffe
	s_and_not1_b32 vcc_lo, exec_lo, s0
	s_wait_alu 0xfffe
	s_cbranch_vccnz .LBB17_71
; %bb.40:
	s_and_b32 s0, s30, 15
	s_mov_b32 s1, 0
	s_mul_i32 s24, s25, s24
	s_wait_alu 0xfffe
	s_cmp_lg_u64 s[0:1], 0
	s_cselect_b32 s0, -1, 0
	s_and_b32 s1, s24, 3
	s_wait_alu 0xfffe
	s_cmp_eq_u32 s1, 0
	s_cselect_b32 s25, -1, 0
	s_cmp_lg_u32 s1, 0
	s_cselect_b32 s1, -1, 0
	s_wait_alu 0xfffe
	s_or_b32 s0, s0, s1
	s_wait_alu 0xfffe
	s_and_b32 vcc_lo, exec_lo, s0
	s_mov_b32 s0, -1
	s_wait_alu 0xfffe
	s_cbranch_vccz .LBB17_51
; %bb.41:
	s_sub_co_i32 s0, 0, s30
	s_mov_b32 s1, exec_lo
	s_wait_alu 0xfffe
	s_bfe_u32 s0, s0, 0x20002
	s_wait_alu 0xfffe
	s_min_i32 s4, s0, s24
	s_wait_alu 0xfffe
	v_cmpx_gt_i32_e64 s4, v0
	s_cbranch_execz .LBB17_44
; %bb.42:
	v_dual_mov_b32 v1, 0 :: v_dual_lshlrev_b32 v2, 2, v0
	s_mov_b32 s2, 0
	s_lshl_b32 s3, s6, 2
	s_mov_b32 s5, 0x43e00000
	s_delay_alu instid0(VALU_DEP_1)
	v_add_co_u32 v2, s0, s30, v2
	s_wait_alu 0xf1ff
	v_add_co_ci_u32_e64 v3, null, s31, 0, s0
	v_dual_mov_b32 v5, v1 :: v_dual_mov_b32 v4, v0
.LBB17_43:                              ; =>This Inner Loop Header: Depth=1
	global_load_b32 v1, v[2:3], off
	s_wait_loadcnt 0x0
	s_wait_kmcnt 0x0
	v_div_scale_f32 v6, null, s42, s42, v1
	v_div_scale_f32 v9, vcc_lo, v1, s42, v1
	s_delay_alu instid0(VALU_DEP_2) | instskip(NEXT) | instid1(TRANS32_DEP_1)
	v_rcp_f32_e32 v7, v6
	v_fma_f32 v8, -v6, v7, 1.0
	s_delay_alu instid0(VALU_DEP_1) | instskip(NEXT) | instid1(VALU_DEP_1)
	v_fmac_f32_e32 v7, v8, v7
	v_mul_f32_e32 v8, v9, v7
	s_delay_alu instid0(VALU_DEP_1) | instskip(NEXT) | instid1(VALU_DEP_1)
	v_fma_f32 v10, -v6, v8, v9
	v_fmac_f32_e32 v8, v10, v7
	s_delay_alu instid0(VALU_DEP_1) | instskip(SKIP_1) | instid1(VALU_DEP_1)
	v_fma_f32 v6, -v6, v8, v9
	s_wait_alu 0xfffd
	v_div_fmas_f32 v8, v6, v7, v8
	v_add_co_u32 v6, vcc_lo, s36, v4
	s_wait_alu 0xfffd
	v_add_co_ci_u32_e64 v7, null, s37, v5, vcc_lo
	s_delay_alu instid0(VALU_DEP_3)
	v_div_fixup_f32 v1, v8, s42, v1
	v_add_co_u32 v4, vcc_lo, v4, s6
	s_wait_alu 0xfffd
	v_add_co_ci_u32_e64 v5, null, 0, v5, vcc_lo
	s_wait_alu 0xfffe
	v_med3_num_f32 v9, v1, s5, 0xc3e00000
	v_cmp_nlg_f32_e64 vcc_lo, 0x7f800000, |v1|
	v_mov_b32_e32 v8, 0
	v_cmp_le_i32_e64 s0, s4, v4
	s_wait_alu 0xfffd
	v_cndmask_b32_e32 v1, v9, v1, vcc_lo
	v_add_co_u32 v2, vcc_lo, v2, s3
	s_wait_alu 0xfffd
	v_add_co_ci_u32_e64 v3, null, 0, v3, vcc_lo
	s_delay_alu instid0(VALU_DEP_3)
	v_cvt_pk_fp8_f32 v8, v1, v1
	s_or_b32 s2, s0, s2
	global_store_b8 v[6:7], v8, off
	s_wait_alu 0xfffe
	s_and_not1_b32 exec_lo, exec_lo, s2
	s_cbranch_execnz .LBB17_43
.LBB17_44:
	s_or_b32 exec_lo, exec_lo, s1
	s_sub_co_i32 s36, s24, s4
	s_ashr_i32 s5, s4, 31
	s_wait_alu 0xfffe
	s_ashr_i32 s0, s36, 31
	s_mov_b32 s37, exec_lo
	s_wait_alu 0xfffe
	s_lshr_b32 s0, s0, 30
	s_wait_alu 0xfffe
	s_add_co_i32 s0, s36, s0
	s_wait_alu 0xfffe
	s_ashr_i32 s7, s0, 2
	s_add_nc_u64 s[0:1], s[4:5], s[22:23]
	s_wait_alu 0xfffe
	s_add_nc_u64 s[20:21], s[0:1], s[18:19]
	v_cmpx_gt_i32_e64 s7, v0
	s_cbranch_execz .LBB17_47
; %bb.45:
	s_lshl_b64 s[0:1], s[4:5], 2
	v_dual_mov_b32 v5, v0 :: v_dual_lshlrev_b32 v2, 4, v0
	s_wait_alu 0xfffe
	s_add_nc_u64 s[0:1], s[8:9], s[0:1]
	v_lshlrev_b32_e32 v1, 2, v0
	s_wait_alu 0xfffe
	s_add_nc_u64 s[0:1], s[0:1], s[34:35]
	s_add_nc_u64 s[2:3], s[12:13], s[20:21]
	s_wait_alu 0xfffe
	v_add_co_u32 v3, s0, s0, v2
	s_wait_alu 0xf1ff
	v_add_co_ci_u32_e64 v4, null, s1, 0, s0
	v_add_co_u32 v1, s0, s2, v1
	s_delay_alu instid0(VALU_DEP_3)
	v_add_co_u32 v3, vcc_lo, v3, 8
	s_wait_alu 0xf1ff
	v_add_co_ci_u32_e64 v2, null, s3, 0, s0
	s_wait_alu 0xfffd
	v_add_co_ci_u32_e64 v4, null, 0, v4, vcc_lo
	s_mov_b32 s38, 0
	s_lshl_b32 s39, s6, 2
	s_lshl_b32 s40, s6, 4
	s_mov_b32 s41, 0x43e00000
.LBB17_46:                              ; =>This Inner Loop Header: Depth=1
	global_load_b128 v[6:9], v[3:4], off offset:-8
	s_wait_alu 0xfffe
	v_add_co_u32 v3, vcc_lo, v3, s40
	s_wait_alu 0xfffd
	v_add_co_ci_u32_e64 v4, null, 0, v4, vcc_lo
	v_dual_mov_b32 v10, 0 :: v_dual_mov_b32 v11, 0
	v_dual_mov_b32 v12, 0 :: v_dual_mov_b32 v13, 0
	s_wait_loadcnt 0x0
	s_wait_kmcnt 0x0
	v_div_scale_f32 v14, null, s42, s42, v6
	v_div_scale_f32 v16, null, s42, s42, v7
	;; [unrolled: 1-line block ×3, first 2 shown]
	s_delay_alu instid0(VALU_DEP_3) | instskip(SKIP_1) | instid1(VALU_DEP_3)
	v_rcp_f32_e32 v22, v14
	v_div_scale_f32 v18, null, s42, s42, v8
	v_rcp_f32_e32 v23, v16
	s_delay_alu instid0(VALU_DEP_2) | instskip(SKIP_1) | instid1(VALU_DEP_2)
	v_rcp_f32_e32 v25, v20
	v_div_scale_f32 v15, vcc_lo, v6, s42, v6
	v_rcp_f32_e32 v24, v18
	v_div_scale_f32 v17, s1, v7, s42, v7
	v_fma_f32 v26, -v14, v22, 1.0
	v_add_nc_u32_e32 v5, s6, v5
	v_div_scale_f32 v19, s2, v8, s42, v8
	s_delay_alu instid0(TRANS32_DEP_3) | instskip(NEXT) | instid1(TRANS32_DEP_2)
	v_fma_f32 v27, -v16, v23, 1.0
	v_fma_f32 v29, -v20, v25, 1.0
	v_fmac_f32_e32 v22, v26, v22
	s_delay_alu instid0(TRANS32_DEP_1) | instskip(SKIP_2) | instid1(VALU_DEP_4)
	v_fma_f32 v28, -v18, v24, 1.0
	v_div_scale_f32 v21, s3, v9, s42, v9
	v_fmac_f32_e32 v23, v27, v23
	v_dual_fmac_f32 v25, v29, v25 :: v_dual_mul_f32 v26, v15, v22
	s_delay_alu instid0(VALU_DEP_4) | instskip(SKIP_1) | instid1(VALU_DEP_4)
	v_fmac_f32_e32 v24, v28, v24
	v_cmp_le_i32_e64 s0, s7, v5
	v_mul_f32_e32 v27, v17, v23
	s_delay_alu instid0(VALU_DEP_4) | instskip(NEXT) | instid1(VALU_DEP_4)
	v_fma_f32 v30, -v14, v26, v15
	v_dual_mul_f32 v28, v19, v24 :: v_dual_mul_f32 v29, v21, v25
	s_delay_alu instid0(VALU_DEP_3) | instskip(SKIP_1) | instid1(VALU_DEP_3)
	v_fma_f32 v31, -v16, v27, v17
	s_or_b32 s38, s0, s38
	v_fmac_f32_e32 v26, v30, v22
	s_delay_alu instid0(VALU_DEP_3) | instskip(SKIP_2) | instid1(VALU_DEP_4)
	v_fma_f32 v32, -v18, v28, v19
	v_fma_f32 v33, -v20, v29, v21
	v_fmac_f32_e32 v27, v31, v23
	v_fma_f32 v14, -v14, v26, v15
	s_delay_alu instid0(VALU_DEP_4) | instskip(NEXT) | instid1(VALU_DEP_3)
	v_fmac_f32_e32 v28, v32, v24
	v_fma_f32 v15, -v16, v27, v17
	s_wait_alu 0xfffd
	s_delay_alu instid0(VALU_DEP_3)
	v_div_fmas_f32 v14, v14, v22, v26
	s_mov_b32 vcc_lo, s1
	v_fma_f32 v16, -v18, v28, v19
	s_wait_alu 0xfffe
	v_div_fmas_f32 v15, v15, v23, v27
	s_mov_b32 vcc_lo, s2
	v_div_fixup_f32 v6, v14, s42, v6
	s_wait_alu 0xfffe
	v_div_fmas_f32 v16, v16, v24, v28
	v_div_fixup_f32 v7, v15, s42, v7
	s_mov_b32 vcc_lo, s3
	v_med3_num_f32 v15, v6, s41, 0xc3e00000
	v_fmac_f32_e32 v29, v33, v25
	v_div_fixup_f32 v8, v16, s42, v8
	v_cmp_nlg_f32_e64 s1, 0x7f800000, |v7|
	s_delay_alu instid0(VALU_DEP_3) | instskip(NEXT) | instid1(VALU_DEP_3)
	v_fma_f32 v17, -v20, v29, v21
	v_med3_num_f32 v16, v8, s41, 0xc3e00000
	v_cmp_nlg_f32_e64 s2, 0x7f800000, |v8|
	s_wait_alu 0xfffe
	s_delay_alu instid0(VALU_DEP_3) | instskip(SKIP_3) | instid1(VALU_DEP_3)
	v_div_fmas_f32 v14, v17, v25, v29
	v_cmp_nlg_f32_e64 vcc_lo, 0x7f800000, |v6|
	s_wait_alu 0xf1ff
	v_cndmask_b32_e64 v8, v16, v8, s2
	v_div_fixup_f32 v9, v14, s42, v9
	v_med3_num_f32 v14, v7, s41, 0xc3e00000
	s_wait_alu 0xfffd
	v_cndmask_b32_e32 v6, v15, v6, vcc_lo
	v_cvt_pk_fp8_f32 v12, v8, v8
	v_med3_num_f32 v15, v9, s41, 0xc3e00000
	v_cmp_nlg_f32_e64 vcc_lo, 0x7f800000, |v9|
	v_cndmask_b32_e64 v7, v14, v7, s1
	v_cvt_pk_fp8_f32 v10, v6, v6
	v_lshlrev_b32_e32 v8, 16, v12
	s_wait_alu 0xfffd
	v_cndmask_b32_e32 v6, v15, v9, vcc_lo
	v_cvt_pk_fp8_f32 v11, v7, v7
	v_and_b32_e32 v7, 0xff, v10
	s_delay_alu instid0(VALU_DEP_3) | instskip(NEXT) | instid1(VALU_DEP_3)
	v_cvt_pk_fp8_f32 v13, v6, v6
	v_lshlrev_b32_e32 v6, 8, v11
	s_delay_alu instid0(VALU_DEP_2) | instskip(NEXT) | instid1(VALU_DEP_2)
	v_perm_b32 v8, v13, v8, 0x4020c0c
	v_and_b32_e32 v6, 0xff00, v6
	s_delay_alu instid0(VALU_DEP_1)
	v_or3_b32 v6, v8, v6, v7
	global_store_b32 v[1:2], v6, off
	v_add_co_u32 v1, vcc_lo, v1, s39
	s_wait_alu 0xfffd
	v_add_co_ci_u32_e64 v2, null, 0, v2, vcc_lo
	s_and_not1_b32 exec_lo, exec_lo, s38
	s_cbranch_execnz .LBB17_46
.LBB17_47:
	s_or_b32 exec_lo, exec_lo, s37
	v_lshl_add_u32 v1, s7, 2, v0
	s_mov_b32 s1, exec_lo
	s_delay_alu instid0(VALU_DEP_1)
	v_cmpx_gt_i32_e64 s36, v1
	s_cbranch_execz .LBB17_50
; %bb.48:
	v_ashrrev_i32_e32 v2, 31, v1
	s_lshl_b64 s[2:3], s[4:5], 2
	s_wait_alu 0xfffe
	s_add_nc_u64 s[20:21], s[12:13], s[20:21]
	s_add_nc_u64 s[2:3], s[34:35], s[2:3]
	s_mov_b32 s7, 0
	v_lshlrev_b64_e32 v[3:4], 2, v[1:2]
	s_wait_alu 0xfffe
	s_add_nc_u64 s[2:3], s[8:9], s[2:3]
	s_lshl_b32 s4, s6, 2
	s_mov_b32 s5, 0x43e00000
	s_mov_b32 s8, s7
	s_wait_alu 0xfffe
	v_add_co_u32 v3, vcc_lo, s2, v3
	s_wait_alu 0xfffd
	v_add_co_ci_u32_e64 v4, null, s3, v4, vcc_lo
	v_add_co_u32 v5, vcc_lo, s20, v1
	s_wait_alu 0xfffd
	v_add_co_ci_u32_e64 v2, null, s21, v2, vcc_lo
	s_mov_b64 s[2:3], 0
.LBB17_49:                              ; =>This Inner Loop Header: Depth=1
	global_load_b32 v7, v[3:4], off
	s_wait_loadcnt 0x0
	s_wait_kmcnt 0x0
	v_div_scale_f32 v6, null, s42, s42, v7
	v_div_scale_f32 v10, vcc_lo, v7, s42, v7
	s_delay_alu instid0(VALU_DEP_2) | instskip(NEXT) | instid1(TRANS32_DEP_1)
	v_rcp_f32_e32 v8, v6
	v_fma_f32 v9, -v6, v8, 1.0
	s_delay_alu instid0(VALU_DEP_1) | instskip(NEXT) | instid1(VALU_DEP_1)
	v_fmac_f32_e32 v8, v9, v8
	v_mul_f32_e32 v9, v10, v8
	s_delay_alu instid0(VALU_DEP_1) | instskip(NEXT) | instid1(VALU_DEP_1)
	v_fma_f32 v11, -v6, v9, v10
	v_fmac_f32_e32 v9, v11, v8
	s_delay_alu instid0(VALU_DEP_1) | instskip(SKIP_2) | instid1(VALU_DEP_2)
	v_fma_f32 v6, -v6, v9, v10
	v_mov_b32_e32 v10, 0
	s_wait_alu 0xfffd
	v_div_fmas_f32 v8, v6, v8, v9
	s_wait_alu 0xfffe
	v_add_co_u32 v6, vcc_lo, v5, s2
	s_delay_alu instid0(VALU_DEP_2)
	v_div_fixup_f32 v8, v8, s42, v7
	s_wait_alu 0xfffd
	v_add_co_ci_u32_e64 v7, null, s3, v2, vcc_lo
	s_add_nc_u64 s[2:3], s[2:3], s[6:7]
	s_wait_alu 0xfffe
	v_add_nc_u32_e32 v11, s2, v1
	v_med3_num_f32 v9, v8, s5, 0xc3e00000
	v_cmp_nlg_f32_e64 vcc_lo, 0x7f800000, |v8|
	s_delay_alu instid0(VALU_DEP_3) | instskip(SKIP_1) | instid1(VALU_DEP_3)
	v_cmp_le_i32_e64 s0, s36, v11
	s_wait_alu 0xfffd
	v_cndmask_b32_e32 v8, v9, v8, vcc_lo
	v_add_co_u32 v3, vcc_lo, v3, s4
	s_wait_alu 0xfffd
	v_add_co_ci_u32_e64 v4, null, 0, v4, vcc_lo
	s_delay_alu instid0(VALU_DEP_3)
	v_cvt_pk_fp8_f32 v10, v8, v8
	s_or_b32 s8, s0, s8
	global_store_b8 v[6:7], v10, off
	s_and_not1_b32 exec_lo, exec_lo, s8
	s_cbranch_execnz .LBB17_49
.LBB17_50:
	s_wait_alu 0xfffe
	s_or_b32 exec_lo, exec_lo, s1
	s_mov_b32 s0, 0
.LBB17_51:
	s_wait_alu 0xfffe
	s_and_b32 vcc_lo, exec_lo, s0
	s_wait_alu 0xfffe
	s_cbranch_vccz .LBB17_56
; %bb.52:
	s_ashr_i32 s4, s24, 2
	s_mov_b32 s5, exec_lo
	s_wait_alu 0xfffe
	v_cmpx_gt_i32_e64 s4, v0
	s_cbranch_execz .LBB17_55
; %bb.53:
	v_lshlrev_b32_e32 v1, 4, v0
	v_dual_mov_b32 v5, v0 :: v_dual_lshlrev_b32 v2, 2, v0
	s_add_nc_u64 s[0:1], s[22:23], s[18:19]
	s_mov_b32 s7, 0
	s_delay_alu instid0(VALU_DEP_2)
	v_add_co_u32 v3, s2, s30, v1
	s_wait_alu 0xf1ff
	v_add_co_ci_u32_e64 v4, null, s31, 0, s2
	s_wait_alu 0xfffe
	s_add_nc_u64 s[0:1], s[12:13], s[0:1]
	v_add_co_u32 v3, vcc_lo, v3, 8
	s_wait_alu 0xfffe
	v_add_co_u32 v1, s0, s0, v2
	s_wait_alu 0xf1ff
	v_add_co_ci_u32_e64 v2, null, s1, 0, s0
	s_wait_alu 0xfffd
	v_add_co_ci_u32_e64 v4, null, 0, v4, vcc_lo
	s_lshl_b32 s8, s6, 2
	s_lshl_b32 s9, s6, 4
	s_mov_b32 s12, 0x43e00000
.LBB17_54:                              ; =>This Inner Loop Header: Depth=1
	global_load_b128 v[6:9], v[3:4], off offset:-8
	v_add_co_u32 v3, vcc_lo, v3, s9
	s_wait_alu 0xfffd
	v_add_co_ci_u32_e64 v4, null, 0, v4, vcc_lo
	v_dual_mov_b32 v10, 0 :: v_dual_mov_b32 v11, 0
	v_dual_mov_b32 v12, 0 :: v_dual_mov_b32 v13, 0
	s_wait_loadcnt 0x0
	s_wait_kmcnt 0x0
	v_div_scale_f32 v14, null, s42, s42, v6
	v_div_scale_f32 v16, null, s42, s42, v7
	;; [unrolled: 1-line block ×3, first 2 shown]
	s_delay_alu instid0(VALU_DEP_3) | instskip(SKIP_1) | instid1(VALU_DEP_3)
	v_rcp_f32_e32 v22, v14
	v_div_scale_f32 v18, null, s42, s42, v8
	v_rcp_f32_e32 v23, v16
	s_delay_alu instid0(VALU_DEP_2) | instskip(SKIP_1) | instid1(VALU_DEP_2)
	v_rcp_f32_e32 v25, v20
	v_div_scale_f32 v15, vcc_lo, v6, s42, v6
	v_rcp_f32_e32 v24, v18
	v_div_scale_f32 v17, s1, v7, s42, v7
	v_fma_f32 v26, -v14, v22, 1.0
	v_add_nc_u32_e32 v5, s6, v5
	v_div_scale_f32 v19, s2, v8, s42, v8
	s_delay_alu instid0(TRANS32_DEP_3) | instskip(NEXT) | instid1(TRANS32_DEP_2)
	v_fma_f32 v27, -v16, v23, 1.0
	v_fma_f32 v29, -v20, v25, 1.0
	v_fmac_f32_e32 v22, v26, v22
	s_delay_alu instid0(TRANS32_DEP_1) | instskip(SKIP_2) | instid1(VALU_DEP_4)
	v_fma_f32 v28, -v18, v24, 1.0
	v_div_scale_f32 v21, s3, v9, s42, v9
	v_fmac_f32_e32 v23, v27, v23
	v_dual_fmac_f32 v25, v29, v25 :: v_dual_mul_f32 v26, v15, v22
	s_delay_alu instid0(VALU_DEP_4) | instskip(SKIP_1) | instid1(VALU_DEP_4)
	v_fmac_f32_e32 v24, v28, v24
	v_cmp_le_i32_e64 s0, s4, v5
	v_mul_f32_e32 v27, v17, v23
	s_delay_alu instid0(VALU_DEP_4) | instskip(NEXT) | instid1(VALU_DEP_4)
	v_fma_f32 v30, -v14, v26, v15
	v_dual_mul_f32 v28, v19, v24 :: v_dual_mul_f32 v29, v21, v25
	s_delay_alu instid0(VALU_DEP_3) | instskip(SKIP_1) | instid1(VALU_DEP_3)
	v_fma_f32 v31, -v16, v27, v17
	s_or_b32 s7, s0, s7
	v_fmac_f32_e32 v26, v30, v22
	s_delay_alu instid0(VALU_DEP_3) | instskip(SKIP_2) | instid1(VALU_DEP_4)
	v_fma_f32 v32, -v18, v28, v19
	v_fma_f32 v33, -v20, v29, v21
	v_fmac_f32_e32 v27, v31, v23
	v_fma_f32 v14, -v14, v26, v15
	s_delay_alu instid0(VALU_DEP_4) | instskip(NEXT) | instid1(VALU_DEP_3)
	v_fmac_f32_e32 v28, v32, v24
	v_fma_f32 v15, -v16, v27, v17
	s_wait_alu 0xfffd
	s_delay_alu instid0(VALU_DEP_3)
	v_div_fmas_f32 v14, v14, v22, v26
	s_mov_b32 vcc_lo, s1
	v_fma_f32 v16, -v18, v28, v19
	s_wait_alu 0xfffe
	v_div_fmas_f32 v15, v15, v23, v27
	s_mov_b32 vcc_lo, s2
	v_div_fixup_f32 v6, v14, s42, v6
	s_wait_alu 0xfffe
	v_div_fmas_f32 v16, v16, v24, v28
	v_div_fixup_f32 v7, v15, s42, v7
	s_mov_b32 vcc_lo, s3
	v_med3_num_f32 v15, v6, s12, 0xc3e00000
	v_fmac_f32_e32 v29, v33, v25
	v_div_fixup_f32 v8, v16, s42, v8
	v_cmp_nlg_f32_e64 s1, 0x7f800000, |v7|
	s_delay_alu instid0(VALU_DEP_3) | instskip(NEXT) | instid1(VALU_DEP_3)
	v_fma_f32 v17, -v20, v29, v21
	v_med3_num_f32 v16, v8, s12, 0xc3e00000
	v_cmp_nlg_f32_e64 s2, 0x7f800000, |v8|
	s_wait_alu 0xfffe
	s_delay_alu instid0(VALU_DEP_3) | instskip(SKIP_3) | instid1(VALU_DEP_3)
	v_div_fmas_f32 v14, v17, v25, v29
	v_cmp_nlg_f32_e64 vcc_lo, 0x7f800000, |v6|
	s_wait_alu 0xf1ff
	v_cndmask_b32_e64 v8, v16, v8, s2
	v_div_fixup_f32 v9, v14, s42, v9
	v_med3_num_f32 v14, v7, s12, 0xc3e00000
	s_wait_alu 0xfffd
	v_cndmask_b32_e32 v6, v15, v6, vcc_lo
	v_cvt_pk_fp8_f32 v12, v8, v8
	v_med3_num_f32 v15, v9, s12, 0xc3e00000
	v_cmp_nlg_f32_e64 vcc_lo, 0x7f800000, |v9|
	v_cndmask_b32_e64 v7, v14, v7, s1
	v_cvt_pk_fp8_f32 v10, v6, v6
	v_lshlrev_b32_e32 v8, 16, v12
	s_wait_alu 0xfffd
	v_cndmask_b32_e32 v6, v15, v9, vcc_lo
	v_cvt_pk_fp8_f32 v11, v7, v7
	v_and_b32_e32 v7, 0xff, v10
	s_delay_alu instid0(VALU_DEP_3) | instskip(NEXT) | instid1(VALU_DEP_3)
	v_cvt_pk_fp8_f32 v13, v6, v6
	v_lshlrev_b32_e32 v6, 8, v11
	s_delay_alu instid0(VALU_DEP_2) | instskip(NEXT) | instid1(VALU_DEP_2)
	v_perm_b32 v8, v13, v8, 0x4020c0c
	v_and_b32_e32 v6, 0xff00, v6
	s_delay_alu instid0(VALU_DEP_1)
	v_or3_b32 v6, v8, v6, v7
	global_store_b32 v[1:2], v6, off
	v_add_co_u32 v1, vcc_lo, v1, s8
	s_wait_alu 0xfffd
	v_add_co_ci_u32_e64 v2, null, 0, v2, vcc_lo
	s_and_not1_b32 exec_lo, exec_lo, s7
	s_cbranch_execnz .LBB17_54
.LBB17_55:
	s_or_b32 exec_lo, exec_lo, s5
.LBB17_56:
	s_and_b32 s0, s16, 15
	s_mov_b32 s1, 0
	s_wait_alu 0xfffe
	s_cmp_lg_u64 s[0:1], 0
	s_cselect_b32 s0, -1, 0
	s_xor_b32 s1, s25, -1
	s_wait_alu 0xfffe
	s_or_b32 s0, s1, s0
	s_wait_alu 0xfffe
	s_and_b32 vcc_lo, exec_lo, s0
	s_mov_b32 s0, -1
	s_wait_alu 0xfffe
	s_cbranch_vccz .LBB17_67
; %bb.57:
	s_sub_co_i32 s0, 0, s16
	s_mov_b32 s1, exec_lo
	s_wait_alu 0xfffe
	s_bfe_u32 s0, s0, 0x20002
	s_wait_alu 0xfffe
	s_min_i32 s4, s0, s24
	s_wait_alu 0xfffe
	v_cmpx_gt_i32_e64 s4, v0
	s_cbranch_execz .LBB17_60
; %bb.58:
	v_dual_mov_b32 v1, 0 :: v_dual_lshlrev_b32 v2, 2, v0
	s_mov_b32 s2, 0
	s_lshl_b32 s3, s6, 2
	s_mov_b32 s5, 0x43e00000
	s_delay_alu instid0(VALU_DEP_1)
	v_add_co_u32 v2, s0, s16, v2
	s_wait_alu 0xf1ff
	v_add_co_ci_u32_e64 v3, null, s17, 0, s0
	v_dual_mov_b32 v5, v1 :: v_dual_mov_b32 v4, v0
.LBB17_59:                              ; =>This Inner Loop Header: Depth=1
	global_load_b32 v1, v[2:3], off
	s_wait_loadcnt 0x0
	s_wait_kmcnt 0x0
	v_div_scale_f32 v6, null, s33, s33, v1
	v_div_scale_f32 v9, vcc_lo, v1, s33, v1
	s_delay_alu instid0(VALU_DEP_2) | instskip(NEXT) | instid1(TRANS32_DEP_1)
	v_rcp_f32_e32 v7, v6
	v_fma_f32 v8, -v6, v7, 1.0
	s_delay_alu instid0(VALU_DEP_1) | instskip(NEXT) | instid1(VALU_DEP_1)
	v_fmac_f32_e32 v7, v8, v7
	v_mul_f32_e32 v8, v9, v7
	s_delay_alu instid0(VALU_DEP_1) | instskip(NEXT) | instid1(VALU_DEP_1)
	v_fma_f32 v10, -v6, v8, v9
	v_fmac_f32_e32 v8, v10, v7
	s_delay_alu instid0(VALU_DEP_1) | instskip(SKIP_1) | instid1(VALU_DEP_1)
	v_fma_f32 v6, -v6, v8, v9
	s_wait_alu 0xfffd
	v_div_fmas_f32 v8, v6, v7, v8
	v_add_co_u32 v6, vcc_lo, s28, v4
	s_wait_alu 0xfffd
	v_add_co_ci_u32_e64 v7, null, s29, v5, vcc_lo
	s_delay_alu instid0(VALU_DEP_3)
	v_div_fixup_f32 v1, v8, s33, v1
	v_add_co_u32 v4, vcc_lo, v4, s6
	s_wait_alu 0xfffd
	v_add_co_ci_u32_e64 v5, null, 0, v5, vcc_lo
	s_wait_alu 0xfffe
	v_med3_num_f32 v9, v1, s5, 0xc3e00000
	v_cmp_nlg_f32_e64 vcc_lo, 0x7f800000, |v1|
	v_mov_b32_e32 v8, 0
	v_cmp_le_i32_e64 s0, s4, v4
	s_wait_alu 0xfffd
	v_cndmask_b32_e32 v1, v9, v1, vcc_lo
	v_add_co_u32 v2, vcc_lo, v2, s3
	s_wait_alu 0xfffd
	v_add_co_ci_u32_e64 v3, null, 0, v3, vcc_lo
	s_delay_alu instid0(VALU_DEP_3)
	v_cvt_pk_fp8_f32 v8, v1, v1
	s_or_b32 s2, s0, s2
	global_store_b8 v[6:7], v8, off
	s_wait_alu 0xfffe
	s_and_not1_b32 exec_lo, exec_lo, s2
	s_cbranch_execnz .LBB17_59
.LBB17_60:
	s_or_b32 exec_lo, exec_lo, s1
	s_sub_co_i32 s12, s24, s4
	s_ashr_i32 s5, s4, 31
	s_wait_alu 0xfffe
	s_ashr_i32 s0, s12, 31
	s_mov_b32 s13, exec_lo
	s_wait_alu 0xfffe
	s_lshr_b32 s0, s0, 30
	s_wait_alu 0xfffe
	s_add_co_i32 s0, s12, s0
	s_wait_alu 0xfffe
	s_ashr_i32 s7, s0, 2
	s_add_nc_u64 s[0:1], s[4:5], s[22:23]
	s_wait_alu 0xfffe
	s_add_nc_u64 s[8:9], s[0:1], s[18:19]
	v_cmpx_gt_i32_e64 s7, v0
	s_cbranch_execz .LBB17_63
; %bb.61:
	s_lshl_b64 s[0:1], s[4:5], 2
	v_dual_mov_b32 v5, v0 :: v_dual_lshlrev_b32 v2, 4, v0
	s_wait_alu 0xfffe
	s_add_nc_u64 s[0:1], s[10:11], s[0:1]
	v_lshlrev_b32_e32 v1, 2, v0
	s_wait_alu 0xfffe
	s_add_nc_u64 s[0:1], s[0:1], s[26:27]
	s_add_nc_u64 s[2:3], s[14:15], s[8:9]
	s_wait_alu 0xfffe
	v_add_co_u32 v3, s0, s0, v2
	s_wait_alu 0xf1ff
	v_add_co_ci_u32_e64 v4, null, s1, 0, s0
	v_add_co_u32 v1, s0, s2, v1
	s_delay_alu instid0(VALU_DEP_3)
	v_add_co_u32 v3, vcc_lo, v3, 8
	s_wait_alu 0xf1ff
	v_add_co_ci_u32_e64 v2, null, s3, 0, s0
	s_wait_alu 0xfffd
	v_add_co_ci_u32_e64 v4, null, 0, v4, vcc_lo
	s_mov_b32 s20, 0
	s_lshl_b32 s21, s6, 2
	s_lshl_b32 s25, s6, 4
	s_mov_b32 s28, 0x43e00000
.LBB17_62:                              ; =>This Inner Loop Header: Depth=1
	global_load_b128 v[6:9], v[3:4], off offset:-8
	s_wait_alu 0xfffe
	v_add_co_u32 v3, vcc_lo, v3, s25
	s_wait_alu 0xfffd
	v_add_co_ci_u32_e64 v4, null, 0, v4, vcc_lo
	v_dual_mov_b32 v10, 0 :: v_dual_mov_b32 v11, 0
	v_dual_mov_b32 v12, 0 :: v_dual_mov_b32 v13, 0
	s_wait_loadcnt 0x0
	s_wait_kmcnt 0x0
	v_div_scale_f32 v14, null, s33, s33, v6
	v_div_scale_f32 v16, null, s33, s33, v7
	;; [unrolled: 1-line block ×3, first 2 shown]
	s_delay_alu instid0(VALU_DEP_3) | instskip(SKIP_1) | instid1(VALU_DEP_3)
	v_rcp_f32_e32 v22, v14
	v_div_scale_f32 v18, null, s33, s33, v8
	v_rcp_f32_e32 v23, v16
	s_delay_alu instid0(VALU_DEP_2) | instskip(SKIP_1) | instid1(VALU_DEP_2)
	v_rcp_f32_e32 v25, v20
	v_div_scale_f32 v15, vcc_lo, v6, s33, v6
	v_rcp_f32_e32 v24, v18
	v_div_scale_f32 v17, s1, v7, s33, v7
	v_fma_f32 v26, -v14, v22, 1.0
	v_add_nc_u32_e32 v5, s6, v5
	v_div_scale_f32 v19, s2, v8, s33, v8
	s_delay_alu instid0(TRANS32_DEP_3) | instskip(NEXT) | instid1(TRANS32_DEP_2)
	v_fma_f32 v27, -v16, v23, 1.0
	v_fma_f32 v29, -v20, v25, 1.0
	v_fmac_f32_e32 v22, v26, v22
	s_delay_alu instid0(TRANS32_DEP_1) | instskip(SKIP_2) | instid1(VALU_DEP_4)
	v_fma_f32 v28, -v18, v24, 1.0
	v_div_scale_f32 v21, s3, v9, s33, v9
	v_fmac_f32_e32 v23, v27, v23
	v_dual_fmac_f32 v25, v29, v25 :: v_dual_mul_f32 v26, v15, v22
	s_delay_alu instid0(VALU_DEP_4) | instskip(SKIP_1) | instid1(VALU_DEP_4)
	v_fmac_f32_e32 v24, v28, v24
	v_cmp_le_i32_e64 s0, s7, v5
	v_mul_f32_e32 v27, v17, v23
	s_delay_alu instid0(VALU_DEP_4) | instskip(NEXT) | instid1(VALU_DEP_4)
	v_fma_f32 v30, -v14, v26, v15
	v_dual_mul_f32 v28, v19, v24 :: v_dual_mul_f32 v29, v21, v25
	s_delay_alu instid0(VALU_DEP_3) | instskip(SKIP_1) | instid1(VALU_DEP_3)
	v_fma_f32 v31, -v16, v27, v17
	s_or_b32 s20, s0, s20
	v_fmac_f32_e32 v26, v30, v22
	s_delay_alu instid0(VALU_DEP_3) | instskip(SKIP_2) | instid1(VALU_DEP_4)
	v_fma_f32 v32, -v18, v28, v19
	v_fma_f32 v33, -v20, v29, v21
	v_fmac_f32_e32 v27, v31, v23
	v_fma_f32 v14, -v14, v26, v15
	s_delay_alu instid0(VALU_DEP_4) | instskip(NEXT) | instid1(VALU_DEP_3)
	v_fmac_f32_e32 v28, v32, v24
	v_fma_f32 v15, -v16, v27, v17
	s_wait_alu 0xfffd
	s_delay_alu instid0(VALU_DEP_3)
	v_div_fmas_f32 v14, v14, v22, v26
	s_mov_b32 vcc_lo, s1
	v_fma_f32 v16, -v18, v28, v19
	s_wait_alu 0xfffe
	v_div_fmas_f32 v15, v15, v23, v27
	s_mov_b32 vcc_lo, s2
	v_div_fixup_f32 v6, v14, s33, v6
	s_wait_alu 0xfffe
	v_div_fmas_f32 v16, v16, v24, v28
	v_div_fixup_f32 v7, v15, s33, v7
	s_mov_b32 vcc_lo, s3
	v_med3_num_f32 v15, v6, s28, 0xc3e00000
	v_fmac_f32_e32 v29, v33, v25
	v_div_fixup_f32 v8, v16, s33, v8
	v_cmp_nlg_f32_e64 s1, 0x7f800000, |v7|
	s_delay_alu instid0(VALU_DEP_3) | instskip(NEXT) | instid1(VALU_DEP_3)
	v_fma_f32 v17, -v20, v29, v21
	v_med3_num_f32 v16, v8, s28, 0xc3e00000
	v_cmp_nlg_f32_e64 s2, 0x7f800000, |v8|
	s_wait_alu 0xfffe
	s_delay_alu instid0(VALU_DEP_3) | instskip(SKIP_3) | instid1(VALU_DEP_3)
	v_div_fmas_f32 v14, v17, v25, v29
	v_cmp_nlg_f32_e64 vcc_lo, 0x7f800000, |v6|
	s_wait_alu 0xf1ff
	v_cndmask_b32_e64 v8, v16, v8, s2
	v_div_fixup_f32 v9, v14, s33, v9
	v_med3_num_f32 v14, v7, s28, 0xc3e00000
	s_wait_alu 0xfffd
	v_cndmask_b32_e32 v6, v15, v6, vcc_lo
	v_cvt_pk_fp8_f32 v12, v8, v8
	v_med3_num_f32 v15, v9, s28, 0xc3e00000
	v_cmp_nlg_f32_e64 vcc_lo, 0x7f800000, |v9|
	v_cndmask_b32_e64 v7, v14, v7, s1
	v_cvt_pk_fp8_f32 v10, v6, v6
	v_lshlrev_b32_e32 v8, 16, v12
	s_wait_alu 0xfffd
	v_cndmask_b32_e32 v6, v15, v9, vcc_lo
	v_cvt_pk_fp8_f32 v11, v7, v7
	v_and_b32_e32 v7, 0xff, v10
	s_delay_alu instid0(VALU_DEP_3) | instskip(NEXT) | instid1(VALU_DEP_3)
	v_cvt_pk_fp8_f32 v13, v6, v6
	v_lshlrev_b32_e32 v6, 8, v11
	s_delay_alu instid0(VALU_DEP_2) | instskip(NEXT) | instid1(VALU_DEP_2)
	v_perm_b32 v8, v13, v8, 0x4020c0c
	v_and_b32_e32 v6, 0xff00, v6
	s_delay_alu instid0(VALU_DEP_1)
	v_or3_b32 v6, v8, v6, v7
	global_store_b32 v[1:2], v6, off
	v_add_co_u32 v1, vcc_lo, v1, s21
	s_wait_alu 0xfffd
	v_add_co_ci_u32_e64 v2, null, 0, v2, vcc_lo
	s_and_not1_b32 exec_lo, exec_lo, s20
	s_cbranch_execnz .LBB17_62
.LBB17_63:
	s_or_b32 exec_lo, exec_lo, s13
	v_lshl_add_u32 v1, s7, 2, v0
	s_mov_b32 s1, exec_lo
	s_delay_alu instid0(VALU_DEP_1)
	v_cmpx_gt_i32_e64 s12, v1
	s_cbranch_execz .LBB17_66
; %bb.64:
	v_ashrrev_i32_e32 v2, 31, v1
	s_lshl_b64 s[2:3], s[4:5], 2
	s_wait_alu 0xfffe
	s_add_nc_u64 s[8:9], s[14:15], s[8:9]
	s_add_nc_u64 s[2:3], s[26:27], s[2:3]
	s_mov_b32 s7, 0
	v_lshlrev_b64_e32 v[3:4], 2, v[1:2]
	s_wait_alu 0xfffe
	s_add_nc_u64 s[2:3], s[10:11], s[2:3]
	s_lshl_b32 s4, s6, 2
	s_mov_b32 s5, 0x43e00000
	s_wait_alu 0xfffe
	v_add_co_u32 v3, vcc_lo, s2, v3
	s_wait_alu 0xfffd
	v_add_co_ci_u32_e64 v4, null, s3, v4, vcc_lo
	v_add_co_u32 v5, vcc_lo, s8, v1
	s_wait_alu 0xfffd
	v_add_co_ci_u32_e64 v2, null, s9, v2, vcc_lo
	s_mov_b64 s[2:3], 0
	s_mov_b32 s8, s7
.LBB17_65:                              ; =>This Inner Loop Header: Depth=1
	global_load_b32 v7, v[3:4], off
	s_wait_loadcnt 0x0
	s_wait_kmcnt 0x0
	v_div_scale_f32 v6, null, s33, s33, v7
	v_div_scale_f32 v10, vcc_lo, v7, s33, v7
	s_delay_alu instid0(VALU_DEP_2) | instskip(NEXT) | instid1(TRANS32_DEP_1)
	v_rcp_f32_e32 v8, v6
	v_fma_f32 v9, -v6, v8, 1.0
	s_delay_alu instid0(VALU_DEP_1) | instskip(NEXT) | instid1(VALU_DEP_1)
	v_fmac_f32_e32 v8, v9, v8
	v_mul_f32_e32 v9, v10, v8
	s_delay_alu instid0(VALU_DEP_1) | instskip(NEXT) | instid1(VALU_DEP_1)
	v_fma_f32 v11, -v6, v9, v10
	v_fmac_f32_e32 v9, v11, v8
	s_delay_alu instid0(VALU_DEP_1) | instskip(SKIP_2) | instid1(VALU_DEP_2)
	v_fma_f32 v6, -v6, v9, v10
	v_mov_b32_e32 v10, 0
	s_wait_alu 0xfffd
	v_div_fmas_f32 v8, v6, v8, v9
	s_wait_alu 0xfffe
	v_add_co_u32 v6, vcc_lo, v5, s2
	s_delay_alu instid0(VALU_DEP_2)
	v_div_fixup_f32 v8, v8, s33, v7
	s_wait_alu 0xfffd
	v_add_co_ci_u32_e64 v7, null, s3, v2, vcc_lo
	s_add_nc_u64 s[2:3], s[2:3], s[6:7]
	s_wait_alu 0xfffe
	v_add_nc_u32_e32 v11, s2, v1
	v_med3_num_f32 v9, v8, s5, 0xc3e00000
	v_cmp_nlg_f32_e64 vcc_lo, 0x7f800000, |v8|
	s_delay_alu instid0(VALU_DEP_3) | instskip(SKIP_1) | instid1(VALU_DEP_3)
	v_cmp_le_i32_e64 s0, s12, v11
	s_wait_alu 0xfffd
	v_cndmask_b32_e32 v8, v9, v8, vcc_lo
	v_add_co_u32 v3, vcc_lo, v3, s4
	s_wait_alu 0xfffd
	v_add_co_ci_u32_e64 v4, null, 0, v4, vcc_lo
	s_delay_alu instid0(VALU_DEP_3)
	v_cvt_pk_fp8_f32 v10, v8, v8
	s_or_b32 s8, s0, s8
	global_store_b8 v[6:7], v10, off
	s_wait_alu 0xfffe
	s_and_not1_b32 exec_lo, exec_lo, s8
	s_cbranch_execnz .LBB17_65
.LBB17_66:
	s_wait_alu 0xfffe
	s_or_b32 exec_lo, exec_lo, s1
	s_mov_b32 s0, 0
.LBB17_67:
	s_wait_alu 0xfffe
	s_and_b32 vcc_lo, exec_lo, s0
	s_wait_alu 0xfffe
	s_cbranch_vccz .LBB17_71
; %bb.68:
	s_ashr_i32 s4, s24, 2
	s_mov_b32 s0, exec_lo
	s_wait_alu 0xfffe
	v_cmpx_gt_i32_e64 s4, v0
	s_cbranch_execz .LBB17_71
; %bb.69:
	v_lshlrev_b32_e32 v1, 4, v0
	v_lshlrev_b32_e32 v2, 2, v0
	s_add_nc_u64 s[0:1], s[22:23], s[18:19]
	s_mov_b32 s5, 0
	s_wait_alu 0xfffe
	s_add_nc_u64 s[0:1], s[14:15], s[0:1]
	v_add_co_u32 v3, s2, s16, v1
	s_wait_alu 0xf1ff
	v_add_co_ci_u32_e64 v4, null, s17, 0, s2
	s_wait_alu 0xfffe
	v_add_co_u32 v1, s0, s0, v2
	v_add_co_u32 v3, vcc_lo, v3, 8
	s_wait_alu 0xf1ff
	v_add_co_ci_u32_e64 v2, null, s1, 0, s0
	s_wait_alu 0xfffd
	v_add_co_ci_u32_e64 v4, null, 0, v4, vcc_lo
	s_lshl_b32 s7, s6, 2
	s_lshl_b32 s8, s6, 4
	s_mov_b32 s9, 0x43e00000
.LBB17_70:                              ; =>This Inner Loop Header: Depth=1
	global_load_b128 v[5:8], v[3:4], off offset:-8
	s_wait_alu 0xfffe
	v_add_co_u32 v3, vcc_lo, v3, s8
	s_wait_alu 0xfffd
	v_add_co_ci_u32_e64 v4, null, 0, v4, vcc_lo
	v_dual_mov_b32 v9, 0 :: v_dual_mov_b32 v10, 0
	v_dual_mov_b32 v11, 0 :: v_dual_mov_b32 v12, 0
	s_wait_loadcnt 0x0
	s_wait_kmcnt 0x0
	v_div_scale_f32 v13, null, s33, s33, v5
	v_div_scale_f32 v15, null, s33, s33, v6
	;; [unrolled: 1-line block ×3, first 2 shown]
	s_delay_alu instid0(VALU_DEP_3) | instskip(SKIP_1) | instid1(VALU_DEP_3)
	v_rcp_f32_e32 v21, v13
	v_div_scale_f32 v17, null, s33, s33, v7
	v_rcp_f32_e32 v22, v15
	s_delay_alu instid0(VALU_DEP_2) | instskip(SKIP_1) | instid1(VALU_DEP_2)
	v_rcp_f32_e32 v24, v19
	v_div_scale_f32 v14, vcc_lo, v5, s33, v5
	v_rcp_f32_e32 v23, v17
	v_div_scale_f32 v16, s1, v6, s33, v6
	v_fma_f32 v25, -v13, v21, 1.0
	v_add_nc_u32_e32 v0, s6, v0
	v_div_scale_f32 v18, s2, v7, s33, v7
	s_delay_alu instid0(TRANS32_DEP_3) | instskip(NEXT) | instid1(TRANS32_DEP_2)
	v_fma_f32 v26, -v15, v22, 1.0
	v_fma_f32 v28, -v19, v24, 1.0
	v_fmac_f32_e32 v21, v25, v21
	s_delay_alu instid0(TRANS32_DEP_1) | instskip(SKIP_2) | instid1(VALU_DEP_4)
	v_fma_f32 v27, -v17, v23, 1.0
	v_div_scale_f32 v20, s3, v8, s33, v8
	v_fmac_f32_e32 v22, v26, v22
	v_dual_fmac_f32 v24, v28, v24 :: v_dual_mul_f32 v25, v14, v21
	s_delay_alu instid0(VALU_DEP_4) | instskip(SKIP_1) | instid1(VALU_DEP_4)
	v_fmac_f32_e32 v23, v27, v23
	v_cmp_le_i32_e64 s0, s4, v0
	v_mul_f32_e32 v26, v16, v22
	s_delay_alu instid0(VALU_DEP_4) | instskip(NEXT) | instid1(VALU_DEP_4)
	v_fma_f32 v29, -v13, v25, v14
	v_dual_mul_f32 v27, v18, v23 :: v_dual_mul_f32 v28, v20, v24
	s_delay_alu instid0(VALU_DEP_3) | instskip(SKIP_1) | instid1(VALU_DEP_3)
	v_fma_f32 v30, -v15, v26, v16
	s_or_b32 s5, s0, s5
	v_fmac_f32_e32 v25, v29, v21
	s_delay_alu instid0(VALU_DEP_3) | instskip(SKIP_2) | instid1(VALU_DEP_4)
	v_fma_f32 v31, -v17, v27, v18
	v_fma_f32 v32, -v19, v28, v20
	v_fmac_f32_e32 v26, v30, v22
	v_fma_f32 v13, -v13, v25, v14
	s_delay_alu instid0(VALU_DEP_4) | instskip(NEXT) | instid1(VALU_DEP_3)
	v_fmac_f32_e32 v27, v31, v23
	v_fma_f32 v14, -v15, v26, v16
	s_wait_alu 0xfffd
	s_delay_alu instid0(VALU_DEP_3)
	v_div_fmas_f32 v13, v13, v21, v25
	s_mov_b32 vcc_lo, s1
	v_fma_f32 v15, -v17, v27, v18
	s_wait_alu 0xfffe
	v_div_fmas_f32 v14, v14, v22, v26
	s_mov_b32 vcc_lo, s2
	v_div_fixup_f32 v5, v13, s33, v5
	s_wait_alu 0xfffe
	v_div_fmas_f32 v15, v15, v23, v27
	v_div_fixup_f32 v6, v14, s33, v6
	s_mov_b32 vcc_lo, s3
	v_med3_num_f32 v14, v5, s9, 0xc3e00000
	v_fmac_f32_e32 v28, v32, v24
	v_div_fixup_f32 v7, v15, s33, v7
	v_cmp_nlg_f32_e64 s1, 0x7f800000, |v6|
	s_delay_alu instid0(VALU_DEP_3) | instskip(NEXT) | instid1(VALU_DEP_3)
	v_fma_f32 v16, -v19, v28, v20
	v_med3_num_f32 v15, v7, s9, 0xc3e00000
	v_cmp_nlg_f32_e64 s2, 0x7f800000, |v7|
	s_wait_alu 0xfffe
	s_delay_alu instid0(VALU_DEP_3) | instskip(SKIP_3) | instid1(VALU_DEP_3)
	v_div_fmas_f32 v13, v16, v24, v28
	v_cmp_nlg_f32_e64 vcc_lo, 0x7f800000, |v5|
	s_wait_alu 0xf1ff
	v_cndmask_b32_e64 v7, v15, v7, s2
	v_div_fixup_f32 v8, v13, s33, v8
	v_med3_num_f32 v13, v6, s9, 0xc3e00000
	s_wait_alu 0xfffd
	v_cndmask_b32_e32 v5, v14, v5, vcc_lo
	v_cvt_pk_fp8_f32 v11, v7, v7
	v_med3_num_f32 v14, v8, s9, 0xc3e00000
	v_cmp_nlg_f32_e64 vcc_lo, 0x7f800000, |v8|
	v_cndmask_b32_e64 v6, v13, v6, s1
	v_cvt_pk_fp8_f32 v9, v5, v5
	v_lshlrev_b32_e32 v7, 16, v11
	s_wait_alu 0xfffd
	v_cndmask_b32_e32 v5, v14, v8, vcc_lo
	v_cvt_pk_fp8_f32 v10, v6, v6
	v_and_b32_e32 v6, 0xff, v9
	s_delay_alu instid0(VALU_DEP_3) | instskip(NEXT) | instid1(VALU_DEP_3)
	v_cvt_pk_fp8_f32 v12, v5, v5
	v_lshlrev_b32_e32 v5, 8, v10
	s_delay_alu instid0(VALU_DEP_2) | instskip(NEXT) | instid1(VALU_DEP_2)
	v_perm_b32 v7, v12, v7, 0x4020c0c
	v_and_b32_e32 v5, 0xff00, v5
	s_delay_alu instid0(VALU_DEP_1)
	v_or3_b32 v5, v7, v5, v6
	global_store_b32 v[1:2], v5, off
	v_add_co_u32 v1, vcc_lo, v1, s7
	s_wait_alu 0xfffd
	v_add_co_ci_u32_e64 v2, null, 0, v2, vcc_lo
	s_and_not1_b32 exec_lo, exec_lo, s5
	s_cbranch_execnz .LBB17_70
.LBB17_71:
	s_endpgm
.LBB17_72:
                                        ; implicit-def: $sgpr28_sgpr29
	s_load_b256 s[8:15], s[0:1], 0x0
	s_branch .LBB17_3
	.section	.rodata,"a",@progbits
	.p2align	6, 0x0
	.amdhsa_kernel _ZN4vllm30reshape_and_cache_flash_kernelIfhLNS_18Fp8KVCacheDataTypeE1EEEvPKT_S4_PT0_S6_PKlllllliiiPKfSA_
		.amdhsa_group_segment_fixed_size 0
		.amdhsa_private_segment_fixed_size 0
		.amdhsa_kernarg_size 368
		.amdhsa_user_sgpr_count 2
		.amdhsa_user_sgpr_dispatch_ptr 0
		.amdhsa_user_sgpr_queue_ptr 0
		.amdhsa_user_sgpr_kernarg_segment_ptr 1
		.amdhsa_user_sgpr_dispatch_id 0
		.amdhsa_user_sgpr_private_segment_size 0
		.amdhsa_wavefront_size32 1
		.amdhsa_uses_dynamic_stack 0
		.amdhsa_enable_private_segment 0
		.amdhsa_system_sgpr_workgroup_id_x 1
		.amdhsa_system_sgpr_workgroup_id_y 0
		.amdhsa_system_sgpr_workgroup_id_z 0
		.amdhsa_system_sgpr_workgroup_info 0
		.amdhsa_system_vgpr_workitem_id 0
		.amdhsa_next_free_vgpr 67
		.amdhsa_next_free_sgpr 49
		.amdhsa_reserve_vcc 1
		.amdhsa_float_round_mode_32 0
		.amdhsa_float_round_mode_16_64 0
		.amdhsa_float_denorm_mode_32 3
		.amdhsa_float_denorm_mode_16_64 3
		.amdhsa_fp16_overflow 0
		.amdhsa_workgroup_processor_mode 1
		.amdhsa_memory_ordered 1
		.amdhsa_forward_progress 1
		.amdhsa_inst_pref_size 89
		.amdhsa_round_robin_scheduling 0
		.amdhsa_exception_fp_ieee_invalid_op 0
		.amdhsa_exception_fp_denorm_src 0
		.amdhsa_exception_fp_ieee_div_zero 0
		.amdhsa_exception_fp_ieee_overflow 0
		.amdhsa_exception_fp_ieee_underflow 0
		.amdhsa_exception_fp_ieee_inexact 0
		.amdhsa_exception_int_div_zero 0
	.end_amdhsa_kernel
	.section	.text._ZN4vllm30reshape_and_cache_flash_kernelIfhLNS_18Fp8KVCacheDataTypeE1EEEvPKT_S4_PT0_S6_PKlllllliiiPKfSA_,"axG",@progbits,_ZN4vllm30reshape_and_cache_flash_kernelIfhLNS_18Fp8KVCacheDataTypeE1EEEvPKT_S4_PT0_S6_PKlllllliiiPKfSA_,comdat
.Lfunc_end17:
	.size	_ZN4vllm30reshape_and_cache_flash_kernelIfhLNS_18Fp8KVCacheDataTypeE1EEEvPKT_S4_PT0_S6_PKlllllliiiPKfSA_, .Lfunc_end17-_ZN4vllm30reshape_and_cache_flash_kernelIfhLNS_18Fp8KVCacheDataTypeE1EEEvPKT_S4_PT0_S6_PKlllllliiiPKfSA_
                                        ; -- End function
	.set _ZN4vllm30reshape_and_cache_flash_kernelIfhLNS_18Fp8KVCacheDataTypeE1EEEvPKT_S4_PT0_S6_PKlllllliiiPKfSA_.num_vgpr, 67
	.set _ZN4vllm30reshape_and_cache_flash_kernelIfhLNS_18Fp8KVCacheDataTypeE1EEEvPKT_S4_PT0_S6_PKlllllliiiPKfSA_.num_agpr, 0
	.set _ZN4vllm30reshape_and_cache_flash_kernelIfhLNS_18Fp8KVCacheDataTypeE1EEEvPKT_S4_PT0_S6_PKlllllliiiPKfSA_.numbered_sgpr, 49
	.set _ZN4vllm30reshape_and_cache_flash_kernelIfhLNS_18Fp8KVCacheDataTypeE1EEEvPKT_S4_PT0_S6_PKlllllliiiPKfSA_.num_named_barrier, 0
	.set _ZN4vllm30reshape_and_cache_flash_kernelIfhLNS_18Fp8KVCacheDataTypeE1EEEvPKT_S4_PT0_S6_PKlllllliiiPKfSA_.private_seg_size, 0
	.set _ZN4vllm30reshape_and_cache_flash_kernelIfhLNS_18Fp8KVCacheDataTypeE1EEEvPKT_S4_PT0_S6_PKlllllliiiPKfSA_.uses_vcc, 1
	.set _ZN4vllm30reshape_and_cache_flash_kernelIfhLNS_18Fp8KVCacheDataTypeE1EEEvPKT_S4_PT0_S6_PKlllllliiiPKfSA_.uses_flat_scratch, 0
	.set _ZN4vllm30reshape_and_cache_flash_kernelIfhLNS_18Fp8KVCacheDataTypeE1EEEvPKT_S4_PT0_S6_PKlllllliiiPKfSA_.has_dyn_sized_stack, 0
	.set _ZN4vllm30reshape_and_cache_flash_kernelIfhLNS_18Fp8KVCacheDataTypeE1EEEvPKT_S4_PT0_S6_PKlllllliiiPKfSA_.has_recursion, 0
	.set _ZN4vllm30reshape_and_cache_flash_kernelIfhLNS_18Fp8KVCacheDataTypeE1EEEvPKT_S4_PT0_S6_PKlllllliiiPKfSA_.has_indirect_call, 0
	.section	.AMDGPU.csdata,"",@progbits
; Kernel info:
; codeLenInByte = 11280
; TotalNumSgprs: 51
; NumVgprs: 67
; ScratchSize: 0
; MemoryBound: 0
; FloatMode: 240
; IeeeMode: 1
; LDSByteSize: 0 bytes/workgroup (compile time only)
; SGPRBlocks: 0
; VGPRBlocks: 8
; NumSGPRsForWavesPerEU: 51
; NumVGPRsForWavesPerEU: 67
; Occupancy: 16
; WaveLimiterHint : 1
; COMPUTE_PGM_RSRC2:SCRATCH_EN: 0
; COMPUTE_PGM_RSRC2:USER_SGPR: 2
; COMPUTE_PGM_RSRC2:TRAP_HANDLER: 0
; COMPUTE_PGM_RSRC2:TGID_X_EN: 1
; COMPUTE_PGM_RSRC2:TGID_Y_EN: 0
; COMPUTE_PGM_RSRC2:TGID_Z_EN: 0
; COMPUTE_PGM_RSRC2:TIDIG_COMP_CNT: 0
	.section	.text._ZN4vllm30reshape_and_cache_flash_kernelIthLNS_18Fp8KVCacheDataTypeE1EEEvPKT_S4_PT0_S6_PKlllllliiiPKfSA_,"axG",@progbits,_ZN4vllm30reshape_and_cache_flash_kernelIthLNS_18Fp8KVCacheDataTypeE1EEEvPKT_S4_PT0_S6_PKlllllliiiPKfSA_,comdat
	.protected	_ZN4vllm30reshape_and_cache_flash_kernelIthLNS_18Fp8KVCacheDataTypeE1EEEvPKT_S4_PT0_S6_PKlllllliiiPKfSA_ ; -- Begin function _ZN4vllm30reshape_and_cache_flash_kernelIthLNS_18Fp8KVCacheDataTypeE1EEEvPKT_S4_PT0_S6_PKlllllliiiPKfSA_
	.globl	_ZN4vllm30reshape_and_cache_flash_kernelIthLNS_18Fp8KVCacheDataTypeE1EEEvPKT_S4_PT0_S6_PKlllllliiiPKfSA_
	.p2align	8
	.type	_ZN4vllm30reshape_and_cache_flash_kernelIthLNS_18Fp8KVCacheDataTypeE1EEEvPKT_S4_PT0_S6_PKlllllliiiPKfSA_,@function
_ZN4vllm30reshape_and_cache_flash_kernelIthLNS_18Fp8KVCacheDataTypeE1EEEvPKT_S4_PT0_S6_PKlllllliiiPKfSA_: ; @_ZN4vllm30reshape_and_cache_flash_kernelIthLNS_18Fp8KVCacheDataTypeE1EEEvPKT_S4_PT0_S6_PKlllllliiiPKfSA_
; %bb.0:
	s_load_b64 s[4:5], s[0:1], 0x20
	s_mov_b32 s2, ttmp9
	s_mov_b32 s3, 0
	s_delay_alu instid0(SALU_CYCLE_1)
	s_lshl_b64 s[6:7], s[2:3], 3
	s_wait_kmcnt 0x0
	s_add_nc_u64 s[4:5], s[4:5], s[6:7]
	s_load_b64 s[4:5], s[4:5], 0x0
	s_wait_kmcnt 0x0
	v_cmp_lt_i64_e64 s6, s[4:5], 0
	s_and_b32 vcc_lo, exec_lo, s6
	s_cbranch_vccnz .LBB18_71
; %bb.1:
	s_load_b96 s[28:30], s[0:1], 0x50
	s_wait_kmcnt 0x0
	s_ashr_i32 s7, s30, 31
	s_mov_b32 s6, s30
	s_delay_alu instid0(SALU_CYCLE_1) | instskip(SKIP_1) | instid1(SALU_CYCLE_1)
	s_or_b64 s[8:9], s[4:5], s[6:7]
	s_mov_b32 s8, s3
	s_cmp_lg_u64 s[8:9], 0
	s_cbranch_scc0 .LBB18_72
; %bb.2:
	s_ashr_i32 s8, s7, 31
	s_delay_alu instid0(SALU_CYCLE_1) | instskip(NEXT) | instid1(SALU_CYCLE_1)
	s_mov_b32 s9, s8
	s_add_nc_u64 s[10:11], s[6:7], s[8:9]
	s_delay_alu instid0(SALU_CYCLE_1) | instskip(NEXT) | instid1(SALU_CYCLE_1)
	s_xor_b64 s[12:13], s[10:11], s[8:9]
	s_cvt_f32_u32 s10, s12
	s_cvt_f32_u32 s11, s13
	s_sub_nc_u64 s[16:17], 0, s[12:13]
	s_delay_alu instid0(SALU_CYCLE_2) | instskip(NEXT) | instid1(SALU_CYCLE_3)
	s_fmamk_f32 s10, s11, 0x4f800000, s10
	v_s_rcp_f32 s10, s10
	s_delay_alu instid0(TRANS32_DEP_1) | instskip(SKIP_1) | instid1(SALU_CYCLE_2)
	s_mul_f32 s10, s10, 0x5f7ffffc
	s_wait_alu 0xfffe
	s_mul_f32 s11, s10, 0x2f800000
	s_wait_alu 0xfffe
	s_delay_alu instid0(SALU_CYCLE_2) | instskip(SKIP_1) | instid1(SALU_CYCLE_2)
	s_trunc_f32 s11, s11
	s_wait_alu 0xfffe
	s_fmamk_f32 s10, s11, 0xcf800000, s10
	s_cvt_u32_f32 s15, s11
	s_mov_b32 s11, 0
	s_wait_alu 0xfffe
	s_cvt_u32_f32 s14, s10
	s_delay_alu instid0(SALU_CYCLE_3) | instskip(NEXT) | instid1(SALU_CYCLE_1)
	s_mul_u64 s[18:19], s[16:17], s[14:15]
	s_mul_hi_u32 s21, s14, s19
	s_mul_i32 s20, s14, s19
	s_mul_hi_u32 s10, s14, s18
	s_mul_i32 s23, s15, s18
	s_wait_alu 0xfffe
	s_add_nc_u64 s[20:21], s[10:11], s[20:21]
	s_mul_hi_u32 s22, s15, s18
	s_mul_hi_u32 s24, s15, s19
	s_add_co_u32 s10, s20, s23
	s_add_co_ci_u32 s10, s21, s22
	s_mul_i32 s18, s15, s19
	s_add_co_ci_u32 s19, s24, 0
	s_wait_alu 0xfffe
	s_add_nc_u64 s[18:19], s[10:11], s[18:19]
	s_delay_alu instid0(SALU_CYCLE_1) | instskip(SKIP_4) | instid1(SALU_CYCLE_1)
	s_add_co_u32 s14, s14, s18
	s_cselect_b32 s10, -1, 0
	s_wait_alu 0xfffe
	s_cmp_lg_u32 s10, 0
	s_add_co_ci_u32 s15, s15, s19
	s_mul_u64 s[16:17], s[16:17], s[14:15]
	s_delay_alu instid0(SALU_CYCLE_1)
	s_mul_hi_u32 s19, s14, s17
	s_mul_i32 s18, s14, s17
	s_mul_hi_u32 s10, s14, s16
	s_mul_i32 s21, s15, s16
	s_wait_alu 0xfffe
	s_add_nc_u64 s[18:19], s[10:11], s[18:19]
	s_mul_hi_u32 s20, s15, s16
	s_mul_hi_u32 s22, s15, s17
	s_add_co_u32 s10, s18, s21
	s_add_co_ci_u32 s10, s19, s20
	s_mul_i32 s16, s15, s17
	s_add_co_ci_u32 s17, s22, 0
	s_wait_alu 0xfffe
	s_add_nc_u64 s[16:17], s[10:11], s[16:17]
	s_delay_alu instid0(SALU_CYCLE_1)
	s_add_co_u32 s20, s14, s16
	s_cselect_b32 s10, -1, 0
	s_wait_alu 0xfffe
	s_cmp_lg_u32 s10, 0
	s_add_co_ci_u32 s21, s15, s17
	s_ashr_i32 s14, s5, 31
	s_delay_alu instid0(SALU_CYCLE_1) | instskip(NEXT) | instid1(SALU_CYCLE_1)
	s_mov_b32 s15, s14
	s_add_nc_u64 s[16:17], s[4:5], s[14:15]
	s_delay_alu instid0(SALU_CYCLE_1) | instskip(NEXT) | instid1(SALU_CYCLE_1)
	s_xor_b64 s[16:17], s[16:17], s[14:15]
	s_mul_hi_u32 s19, s16, s21
	s_mul_i32 s18, s16, s21
	s_mul_hi_u32 s10, s16, s20
	s_mul_i32 s24, s17, s20
	s_wait_alu 0xfffe
	s_add_nc_u64 s[18:19], s[10:11], s[18:19]
	s_mul_hi_u32 s23, s17, s20
	s_mul_hi_u32 s22, s17, s21
	s_add_co_u32 s10, s18, s24
	s_add_co_ci_u32 s10, s19, s23
	s_mul_i32 s20, s17, s21
	s_add_co_ci_u32 s21, s22, 0
	s_wait_alu 0xfffe
	s_add_nc_u64 s[18:19], s[10:11], s[20:21]
	s_delay_alu instid0(SALU_CYCLE_1) | instskip(NEXT) | instid1(SALU_CYCLE_1)
	s_mul_u64 s[20:21], s[12:13], s[18:19]
	s_sub_co_u32 s10, s16, s20
	s_cselect_b32 s16, -1, 0
	s_sub_co_i32 s20, s17, s21
	s_cmp_lg_u32 s16, 0
	s_sub_co_ci_u32 s20, s20, s13
	s_wait_alu 0xfffe
	s_sub_co_u32 s22, s10, s12
	s_cselect_b32 s23, -1, 0
	s_delay_alu instid0(SALU_CYCLE_1) | instskip(SKIP_1) | instid1(SALU_CYCLE_1)
	s_cmp_lg_u32 s23, 0
	s_sub_co_ci_u32 s20, s20, 0
	s_cmp_ge_u32 s20, s13
	s_cselect_b32 s24, -1, 0
	s_cmp_ge_u32 s22, s12
	s_add_nc_u64 s[22:23], s[18:19], 1
	s_cselect_b32 s25, -1, 0
	s_cmp_eq_u32 s20, s13
	s_cselect_b32 s20, s25, s24
	s_add_nc_u64 s[24:25], s[18:19], 2
	s_cmp_lg_u32 s20, 0
	s_cselect_b32 s20, s24, s22
	s_cselect_b32 s22, s25, s23
	s_cmp_lg_u32 s16, 0
	s_sub_co_ci_u32 s16, s17, s21
	s_delay_alu instid0(SALU_CYCLE_1)
	s_cmp_ge_u32 s16, s13
	s_cselect_b32 s17, -1, 0
	s_cmp_ge_u32 s10, s12
	s_cselect_b32 s10, -1, 0
	s_cmp_eq_u32 s16, s13
	s_wait_alu 0xfffe
	s_cselect_b32 s10, s10, s17
	s_wait_alu 0xfffe
	s_cmp_lg_u32 s10, 0
	s_cselect_b32 s13, s22, s19
	s_cselect_b32 s12, s20, s18
	s_xor_b64 s[8:9], s[14:15], s[8:9]
	s_delay_alu instid0(SALU_CYCLE_1) | instskip(NEXT) | instid1(SALU_CYCLE_1)
	s_xor_b64 s[12:13], s[12:13], s[8:9]
	s_sub_nc_u64 s[8:9], s[12:13], s[8:9]
	s_load_b256 s[12:19], s[0:1], 0x0
	s_cbranch_execnz .LBB18_4
.LBB18_3:
	v_cvt_f32_u32_e32 v1, s6
	s_sub_co_i32 s9, 0, s6
	s_delay_alu instid0(VALU_DEP_1) | instskip(NEXT) | instid1(TRANS32_DEP_1)
	v_rcp_iflag_f32_e32 v1, v1
	v_mul_f32_e32 v1, 0x4f7ffffe, v1
	s_delay_alu instid0(VALU_DEP_1) | instskip(NEXT) | instid1(VALU_DEP_1)
	v_cvt_u32_f32_e32 v1, v1
	v_readfirstlane_b32 s8, v1
	s_mul_i32 s9, s9, s8
	s_delay_alu instid0(SALU_CYCLE_1) | instskip(NEXT) | instid1(SALU_CYCLE_1)
	s_mul_hi_u32 s9, s8, s9
	s_add_co_i32 s8, s8, s9
	s_delay_alu instid0(SALU_CYCLE_1) | instskip(NEXT) | instid1(SALU_CYCLE_1)
	s_mul_hi_u32 s8, s4, s8
	s_mul_i32 s9, s8, s6
	s_add_co_i32 s10, s8, 1
	s_sub_co_i32 s9, s4, s9
	s_delay_alu instid0(SALU_CYCLE_1)
	s_sub_co_i32 s11, s9, s6
	s_cmp_ge_u32 s9, s6
	s_wait_alu 0xfffe
	s_cselect_b32 s8, s10, s8
	s_cselect_b32 s9, s11, s9
	s_add_co_i32 s10, s8, 1
	s_cmp_ge_u32 s9, s6
	s_mov_b32 s9, 0
	s_wait_alu 0xfffe
	s_cselect_b32 s8, s10, s8
.LBB18_4:
	s_clause 0x3
	s_load_b128 s[36:39], s[0:1], 0x60
	s_load_b256 s[20:27], s[0:1], 0x28
	s_load_b64 s[10:11], s[0:1], 0x48
	s_load_b32 s42, s[0:1], 0x7c
	s_mul_u64 s[0:1], s[8:9], s[6:7]
	s_wait_kmcnt 0x0
	s_load_b32 s46, s[36:37], 0x0
	s_load_b32 s33, s[38:39], 0x0
	s_mul_u64 s[6:7], s[26:27], s[2:3]
	s_sub_nc_u64 s[0:1], s[4:5], s[0:1]
	s_mul_u64 s[26:27], s[8:9], s[20:21]
	s_mul_u64 s[2:3], s[10:11], s[2:3]
	;; [unrolled: 1-line block ×3, first 2 shown]
	s_add_nc_u64 s[0:1], s[18:19], s[26:27]
	s_wait_alu 0xfffe
	s_lshl_b64 s[38:39], s[6:7], 1
	s_lshl_b64 s[30:31], s[2:3], 1
	s_add_nc_u64 s[2:3], s[16:17], s[26:27]
	s_add_nc_u64 s[34:35], s[0:1], s[22:23]
	s_ashr_i32 s1, s29, 31
	s_mov_b32 s0, s29
	s_and_b32 s10, s42, 0xffff
	s_add_nc_u64 s[36:37], s[12:13], s[38:39]
	s_add_nc_u64 s[20:21], s[14:15], s[30:31]
	;; [unrolled: 1-line block ×3, first 2 shown]
	s_cmp_lg_u64 s[24:25], s[0:1]
	s_mov_b32 s0, -1
	s_cbranch_scc0 .LBB18_39
; %bb.5:
	v_lshrrev_b32_e32 v24, 5, v0
	s_mov_b32 s9, exec_lo
	s_delay_alu instid0(VALU_DEP_1)
	v_cmpx_gt_i32_e64 s28, v24
	s_cbranch_execz .LBB18_38
; %bb.6:
	s_add_nc_u64 s[0:1], s[22:23], s[26:27]
	v_and_b32_e32 v25, 31, v0
	v_mad_co_u64_u32 v[1:2], null, s24, v24, s[0:1]
	s_and_b32 s0, s29, 7
	s_wait_alu 0xfffe
	s_lshr_b32 s42, s10, 5
	s_cmp_eq_u32 s0, 0
	v_mul_lo_u32 v5, s29, v24
	s_cselect_b32 s1, -1, 0
	s_ashr_i32 s11, s29, 3
	v_dual_mov_b32 v3, v2 :: v_dual_mov_b32 v2, 0
	v_lshlrev_b32_e32 v34, 1, v25
	v_lshlrev_b32_e32 v9, 4, v25
	s_wait_alu 0xfffe
	v_cmp_gt_i32_e64 s0, s11, v25
	v_mad_co_u64_u32 v[6:7], null, s25, v24, v[3:4]
	v_lshlrev_b32_e32 v3, 3, v25
	v_add_co_u32 v26, s2, s36, v9
	s_delay_alu instid0(VALU_DEP_1) | instskip(NEXT) | instid1(VALU_DEP_3)
	v_add_co_ci_u32_e64 v27, null, s37, 0, s2
	v_add_co_u32 v7, vcc_lo, v1, v3
	s_delay_alu instid0(VALU_DEP_1) | instskip(SKIP_1) | instid1(VALU_DEP_3)
	v_add_co_ci_u32_e64 v8, null, 0, v6, vcc_lo
	v_add_co_u32 v30, s2, s20, v9
	v_add_co_u32 v3, vcc_lo, s16, v7
	s_wait_alu 0xfffd
	s_delay_alu instid0(VALU_DEP_3)
	v_add_co_ci_u32_e64 v4, null, s17, v8, vcc_lo
	v_add_co_u32 v28, vcc_lo, s16, v1
	s_wait_alu 0xfffd
	v_add_co_ci_u32_e64 v29, null, s17, v6, vcc_lo
	v_add_co_u32 v7, vcc_lo, s18, v7
	s_wait_alu 0xfffd
	;; [unrolled: 3-line block ×3, first 2 shown]
	v_add_co_ci_u32_e64 v31, null, s21, 0, s2
	s_wait_alu 0xfffd
	v_add_co_ci_u32_e64 v33, null, s19, v6, vcc_lo
	s_mov_b32 s43, 0
	s_mul_i32 s47, s29, s42
	s_mul_u64 s[44:45], s[24:25], s[42:43]
	s_xor_b32 s48, s1, -1
	s_mov_b32 s49, 0x43e00000
	s_branch .LBB18_9
.LBB18_7:                               ;   in Loop: Header=BB18_9 Depth=1
	s_or_b32 exec_lo, exec_lo, s51
.LBB18_8:                               ;   in Loop: Header=BB18_9 Depth=1
	s_delay_alu instid0(SALU_CYCLE_1)
	s_or_b32 exec_lo, exec_lo, s50
	v_add_co_u32 v3, vcc_lo, v3, s44
	v_add_nc_u32_e32 v24, s42, v24
	s_wait_alu 0xfffd
	v_add_co_ci_u32_e64 v4, null, s45, v4, vcc_lo
	v_add_co_u32 v28, vcc_lo, v28, s44
	s_wait_alu 0xfffd
	v_add_co_ci_u32_e64 v29, null, s45, v29, vcc_lo
	v_add_co_u32 v7, vcc_lo, v7, s44
	s_wait_alu 0xfffd
	v_add_co_ci_u32_e64 v8, null, s45, v8, vcc_lo
	v_cmp_le_i32_e32 vcc_lo, s28, v24
	v_add_co_u32 v32, s1, v32, s44
	v_add_nc_u32_e32 v5, s47, v5
	s_wait_alu 0xf1ff
	v_add_co_ci_u32_e64 v33, null, s45, v33, s1
	s_or_b32 s43, vcc_lo, s43
	s_wait_alu 0xfffe
	s_and_not1_b32 exec_lo, exec_lo, s43
	s_cbranch_execz .LBB18_38
.LBB18_9:                               ; =>This Loop Header: Depth=1
                                        ;     Child Loop BB18_14 Depth 2
                                        ;     Child Loop BB18_17 Depth 2
	;; [unrolled: 1-line block ×6, first 2 shown]
	v_mul_lo_u32 v9, v24, s29
	v_mad_co_u64_u32 v[11:12], null, s24, v24, 0
	v_ashrrev_i32_e32 v6, 31, v5
	s_delay_alu instid0(VALU_DEP_3) | instskip(NEXT) | instid1(VALU_DEP_1)
	v_ashrrev_i32_e32 v10, 31, v9
	v_lshlrev_b64_e32 v[14:15], 1, v[9:10]
	s_delay_alu instid0(VALU_DEP_4) | instskip(NEXT) | instid1(VALU_DEP_1)
	v_mov_b32_e32 v9, v12
	v_mad_co_u64_u32 v[12:13], null, s25, v24, v[9:10]
	s_delay_alu instid0(VALU_DEP_3) | instskip(SKIP_1) | instid1(VALU_DEP_4)
	v_add_co_u32 v17, vcc_lo, s36, v14
	s_wait_alu 0xfffd
	v_add_co_ci_u32_e64 v18, null, s37, v15, vcc_lo
	v_lshlrev_b64_e32 v[9:10], 1, v[5:6]
	s_delay_alu instid0(VALU_DEP_3) | instskip(NEXT) | instid1(VALU_DEP_1)
	v_and_b32_e32 v1, 15, v17
	v_cmp_ne_u64_e32 vcc_lo, 0, v[1:2]
	s_or_b32 s1, s48, vcc_lo
	s_wait_alu 0xfffe
	s_and_saveexec_b32 s2, s1
	s_wait_alu 0xfffe
	s_xor_b32 s50, exec_lo, s2
	s_cbranch_execz .LBB18_19
; %bb.10:                               ;   in Loop: Header=BB18_9 Depth=1
	v_sub_nc_u32_e32 v1, 0, v17
	s_mov_b32 s1, exec_lo
	s_delay_alu instid0(VALU_DEP_1) | instskip(NEXT) | instid1(VALU_DEP_1)
	v_bfe_u32 v1, v1, 1, 3
	v_min_i32_e32 v16, s29, v1
	s_delay_alu instid0(VALU_DEP_1)
	v_cmpx_lt_i32_e64 v25, v16
	s_cbranch_execz .LBB18_12
; %bb.11:                               ;   in Loop: Header=BB18_9 Depth=1
	v_add_co_u32 v17, vcc_lo, v17, v34
	s_wait_alu 0xfffd
	v_add_co_ci_u32_e64 v18, null, 0, v18, vcc_lo
	global_load_u16 v1, v[17:18], off
	s_wait_loadcnt 0x0
	v_cvt_f32_f16_e32 v1, v1
	s_wait_kmcnt 0x0
	s_delay_alu instid0(VALU_DEP_1) | instskip(SKIP_1) | instid1(VALU_DEP_2)
	v_div_scale_f32 v6, null, s46, s46, v1
	v_div_scale_f32 v18, vcc_lo, v1, s46, v1
	v_rcp_f32_e32 v13, v6
	s_delay_alu instid0(TRANS32_DEP_1) | instskip(NEXT) | instid1(VALU_DEP_1)
	v_fma_f32 v17, -v6, v13, 1.0
	v_fmac_f32_e32 v13, v17, v13
	s_delay_alu instid0(VALU_DEP_1) | instskip(NEXT) | instid1(VALU_DEP_1)
	v_mul_f32_e32 v17, v18, v13
	v_fma_f32 v19, -v6, v17, v18
	s_delay_alu instid0(VALU_DEP_1) | instskip(NEXT) | instid1(VALU_DEP_1)
	v_fmac_f32_e32 v17, v19, v13
	v_fma_f32 v6, -v6, v17, v18
	s_wait_alu 0xfffd
	s_delay_alu instid0(VALU_DEP_1) | instskip(SKIP_3) | instid1(VALU_DEP_3)
	v_div_fmas_f32 v6, v6, v13, v17
	v_add_co_u32 v13, vcc_lo, s40, v11
	s_wait_alu 0xfffd
	v_add_co_ci_u32_e64 v18, null, s41, v12, vcc_lo
	v_div_fixup_f32 v1, v6, s46, v1
	s_delay_alu instid0(VALU_DEP_1) | instskip(NEXT) | instid1(VALU_DEP_1)
	v_cvt_f16_f32_e32 v1, v1
	v_cvt_f32_f16_e32 v1, v1
	s_delay_alu instid0(VALU_DEP_1) | instskip(SKIP_2) | instid1(VALU_DEP_2)
	v_med3_num_f32 v6, v1, s49, 0xc3e00000
	v_cmp_nlg_f32_e64 vcc_lo, 0x7f800000, |v1|
	s_wait_alu 0xfffd
	v_cndmask_b32_e32 v1, v6, v1, vcc_lo
	v_mov_b32_e32 v6, v2
	v_add_co_u32 v17, vcc_lo, v13, v25
	s_wait_alu 0xfffd
	v_add_co_ci_u32_e64 v18, null, 0, v18, vcc_lo
	s_delay_alu instid0(VALU_DEP_3)
	v_cvt_pk_fp8_f32 v6, v1, v1
	global_store_b8 v[17:18], v6, off
.LBB18_12:                              ;   in Loop: Header=BB18_9 Depth=1
	s_wait_alu 0xfffe
	s_or_b32 exec_lo, exec_lo, s1
	v_sub_nc_u32_e32 v1, s29, v16
	v_ashrrev_i32_e32 v17, 31, v16
	s_mov_b32 s51, exec_lo
	s_delay_alu instid0(VALU_DEP_2) | instskip(NEXT) | instid1(VALU_DEP_2)
	v_ashrrev_i32_e32 v6, 31, v1
	v_lshlrev_b64_e32 v[18:19], 1, v[16:17]
	s_delay_alu instid0(VALU_DEP_2) | instskip(NEXT) | instid1(VALU_DEP_1)
	v_lshrrev_b32_e32 v6, 29, v6
	v_add_nc_u32_e32 v6, v1, v6
	s_delay_alu instid0(VALU_DEP_1) | instskip(NEXT) | instid1(VALU_DEP_1)
	v_ashrrev_i32_e32 v6, 3, v6
	v_cmpx_lt_i32_e64 v25, v6
	s_cbranch_execz .LBB18_15
; %bb.13:                               ;   in Loop: Header=BB18_9 Depth=1
	v_add_co_u32 v13, vcc_lo, v18, v9
	s_wait_alu 0xfffd
	v_add_co_ci_u32_e64 v23, null, v19, v10, vcc_lo
	v_add_co_u32 v20, vcc_lo, v3, v16
	s_wait_alu 0xfffd
	v_add_co_ci_u32_e64 v21, null, v4, v17, vcc_lo
	;; [unrolled: 3-line block ×3, first 2 shown]
	v_mov_b32_e32 v13, v25
	s_mov_b32 s52, 0
.LBB18_14:                              ;   Parent Loop BB18_9 Depth=1
                                        ; =>  This Inner Loop Header: Depth=2
	global_load_b128 v[35:38], v[22:23], off
	v_add_co_u32 v22, vcc_lo, 0x200, v22
	s_wait_alu 0xfffd
	v_add_co_ci_u32_e64 v23, null, 0, v23, vcc_lo
	v_dual_mov_b32 v39, 0 :: v_dual_mov_b32 v40, 0
	v_dual_mov_b32 v41, 0 :: v_dual_mov_b32 v42, 0
	;; [unrolled: 1-line block ×4, first 2 shown]
	s_wait_loadcnt 0x0
	v_lshrrev_b32_e32 v47, 16, v35
	v_cvt_f32_f16_e32 v35, v35
	v_lshrrev_b32_e32 v48, 16, v36
	v_lshrrev_b32_e32 v49, 16, v37
	;; [unrolled: 1-line block ×3, first 2 shown]
	v_cvt_f32_f16_e32 v36, v36
	v_cvt_f32_f16_e32 v37, v37
	;; [unrolled: 1-line block ×3, first 2 shown]
	s_wait_kmcnt 0x0
	v_div_scale_f32 v51, null, s46, s46, v35
	v_cvt_f32_f16_e32 v47, v47
	v_div_scale_f32 v53, null, s46, s46, v36
	v_cvt_f32_f16_e32 v48, v48
	v_div_scale_f32 v55, null, s46, s46, v37
	v_div_scale_f32 v57, null, s46, s46, v38
	v_cvt_f32_f16_e32 v50, v50
	v_rcp_f32_e32 v59, v51
	v_div_scale_f32 v60, null, s46, s46, v47
	v_rcp_f32_e32 v62, v53
	v_div_scale_f32 v63, null, s46, s46, v48
	v_rcp_f32_e32 v65, v55
	v_rcp_f32_e32 v68, v57
	v_div_scale_f32 v69, null, s46, s46, v50
	v_rcp_f32_e32 v71, v60
	v_rcp_f32_e32 v72, v63
	v_fma_f32 v75, -v51, v59, 1.0
	s_delay_alu instid0(VALU_DEP_2)
	v_rcp_f32_e32 v74, v69
	v_div_scale_f32 v52, vcc_lo, v35, s46, v35
	v_fma_f32 v76, -v53, v62, 1.0
	v_fma_f32 v77, -v55, v65, 1.0
	;; [unrolled: 1-line block ×3, first 2 shown]
	v_fmac_f32_e32 v59, v75, v59
	v_cvt_f32_f16_e32 v49, v49
	v_dual_fmac_f32 v62, v76, v62 :: v_dual_add_nc_u32 v13, 32, v13
	v_div_scale_f32 v56, s3, v37, s46, v37
	v_fma_f32 v75, -v60, v71, 1.0
	v_fma_f32 v76, -v63, v72, 1.0
	v_dual_fmac_f32 v65, v77, v65 :: v_dual_fmac_f32 v68, v78, v68
	v_fma_f32 v78, -v69, v74, 1.0
	v_mul_f32_e32 v79, v52, v59
	v_div_scale_f32 v66, null, s46, s46, v49
	v_dual_fmac_f32 v71, v75, v71 :: v_dual_fmac_f32 v72, v76, v72
	v_mul_f32_e32 v76, v56, v65
	v_fmac_f32_e32 v74, v78, v74
	v_fma_f32 v78, -v51, v79, v52
	v_div_scale_f32 v54, s2, v36, s46, v36
	v_div_scale_f32 v61, s5, v47, s46, v47
	v_rcp_f32_e32 v73, v66
	v_fma_f32 v83, -v55, v76, v56
	v_fmac_f32_e32 v79, v78, v59
	s_delay_alu instid0(VALU_DEP_3) | instskip(SKIP_1) | instid1(VALU_DEP_4)
	v_dual_mul_f32 v75, v54, v62 :: v_dual_mul_f32 v80, v61, v71
	v_div_scale_f32 v64, s6, v48, s46, v48
	v_fmac_f32_e32 v76, v83, v65
	s_delay_alu instid0(VALU_DEP_4) | instskip(NEXT) | instid1(VALU_DEP_4)
	v_fma_f32 v51, -v51, v79, v52
	v_fma_f32 v81, -v53, v75, v54
	;; [unrolled: 1-line block ×3, first 2 shown]
	s_delay_alu instid0(TRANS32_DEP_1)
	v_fma_f32 v77, -v66, v73, 1.0
	v_div_scale_f32 v58, s4, v38, s46, v38
	s_wait_alu 0xfffd
	v_div_fmas_f32 v51, v51, v59, v79
	v_dual_fmac_f32 v75, v81, v62 :: v_dual_fmac_f32 v80, v78, v71
	v_div_scale_f32 v67, s7, v49, s46, v49
	v_dual_fmac_f32 v73, v77, v73 :: v_dual_mul_f32 v82, v64, v72
	s_delay_alu instid0(VALU_DEP_4) | instskip(NEXT) | instid1(VALU_DEP_4)
	v_div_fixup_f32 v35, v51, s46, v35
	v_fma_f32 v52, -v53, v75, v54
	v_fma_f32 v53, -v55, v76, v56
	;; [unrolled: 1-line block ×3, first 2 shown]
	v_dual_mul_f32 v77, v58, v68 :: v_dual_mul_f32 v84, v67, v73
	s_mov_b32 vcc_lo, s5
	v_fma_f32 v81, -v63, v82, v64
	v_cvt_f16_f32_e32 v35, v35
	v_div_scale_f32 v70, s8, v50, s46, v50
	s_wait_alu 0xfffe
	v_div_fmas_f32 v51, v55, v71, v80
	v_fma_f32 v85, -v57, v77, v58
	v_fma_f32 v83, -v66, v84, v67
	v_cvt_f32_f16_e32 v35, v35
	v_fmac_f32_e32 v82, v81, v72
	s_delay_alu instid0(VALU_DEP_4) | instskip(SKIP_2) | instid1(VALU_DEP_4)
	v_dual_mul_f32 v86, v70, v74 :: v_dual_fmac_f32 v77, v85, v68
	v_div_fixup_f32 v47, v51, s46, v47
	v_fmac_f32_e32 v84, v83, v73
	v_fma_f32 v56, -v63, v82, v64
	s_delay_alu instid0(VALU_DEP_4)
	v_fma_f32 v85, -v69, v86, v70
	s_mov_b32 vcc_lo, s2
	v_cvt_f16_f32_e32 v47, v47
	s_wait_alu 0xfffe
	v_div_fmas_f32 v52, v52, v62, v75
	s_mov_b32 vcc_lo, s6
	v_fma_f32 v54, -v57, v77, v58
	v_fma_f32 v57, -v66, v84, v67
	s_wait_alu 0xfffe
	v_div_fmas_f32 v55, v56, v72, v82
	s_mov_b32 vcc_lo, s3
	v_cvt_f32_f16_e32 v47, v47
	v_fmac_f32_e32 v86, v85, v74
	s_wait_alu 0xfffe
	v_div_fmas_f32 v51, v53, v65, v76
	s_mov_b32 vcc_lo, s7
	v_div_fixup_f32 v36, v52, s46, v36
	s_wait_alu 0xfffe
	v_div_fmas_f32 v52, v57, v73, v84
	s_mov_b32 vcc_lo, s4
	v_fma_f32 v58, -v69, v86, v70
	v_div_fixup_f32 v48, v55, s46, v48
	s_wait_alu 0xfffe
	v_div_fmas_f32 v53, v54, v68, v77
	s_mov_b32 vcc_lo, s8
	v_div_fixup_f32 v37, v51, s46, v37
	v_cvt_f16_f32_e32 v36, v36
	s_wait_alu 0xfffe
	v_div_fmas_f32 v51, v58, v74, v86
	v_div_fixup_f32 v49, v52, s46, v49
	v_cvt_f16_f32_e32 v48, v48
	v_med3_num_f32 v52, v35, s49, 0xc3e00000
	v_cmp_nlg_f32_e64 vcc_lo, 0x7f800000, |v35|
	v_div_fixup_f32 v38, v53, s46, v38
	v_cvt_f16_f32_e32 v37, v37
	v_cvt_f32_f16_e32 v36, v36
	v_div_fixup_f32 v50, v51, s46, v50
	v_cvt_f16_f32_e32 v49, v49
	v_cvt_f32_f16_e32 v48, v48
	s_wait_alu 0xfffd
	v_cndmask_b32_e32 v35, v52, v35, vcc_lo
	v_med3_num_f32 v51, v47, s49, 0xc3e00000
	v_cmp_nlg_f32_e64 vcc_lo, 0x7f800000, |v47|
	v_cvt_f16_f32_e32 v38, v38
	v_cvt_f32_f16_e32 v37, v37
	v_med3_num_f32 v52, v36, s49, 0xc3e00000
	v_cmp_nlg_f32_e64 s2, 0x7f800000, |v36|
	v_cvt_f16_f32_e32 v50, v50
	v_cvt_f32_f16_e32 v49, v49
	v_med3_num_f32 v53, v48, s49, 0xc3e00000
	v_cmp_nlg_f32_e64 s3, 0x7f800000, |v48|
	v_cvt_pk_fp8_f32 v39, v35, v35
	s_wait_alu 0xfffd
	v_cndmask_b32_e32 v35, v51, v47, vcc_lo
	v_cvt_f32_f16_e32 v38, v38
	v_med3_num_f32 v47, v37, s49, 0xc3e00000
	v_cmp_nlg_f32_e64 vcc_lo, 0x7f800000, |v37|
	s_wait_alu 0xf1ff
	v_cndmask_b32_e64 v36, v52, v36, s2
	v_cvt_f32_f16_e32 v50, v50
	v_med3_num_f32 v51, v49, s49, 0xc3e00000
	v_cmp_nlg_f32_e64 s2, 0x7f800000, |v49|
	v_cndmask_b32_e64 v48, v53, v48, s3
	v_cvt_pk_fp8_f32 v40, v35, v35
	v_med3_num_f32 v35, v38, s49, 0xc3e00000
	v_cmp_nlg_f32_e64 s3, 0x7f800000, |v38|
	s_wait_alu 0xfffd
	v_cndmask_b32_e32 v37, v47, v37, vcc_lo
	v_cvt_pk_fp8_f32 v41, v36, v36
	v_med3_num_f32 v36, v50, s49, 0xc3e00000
	v_cmp_nlg_f32_e64 vcc_lo, 0x7f800000, |v50|
	s_wait_alu 0xf1ff
	v_cndmask_b32_e64 v47, v51, v49, s2
	v_cndmask_b32_e64 v35, v35, v38, s3
	v_cvt_pk_fp8_f32 v42, v48, v48
	v_lshlrev_b32_e32 v38, 8, v40
	v_cvt_pk_fp8_f32 v43, v37, v37
	s_wait_alu 0xfffd
	v_dual_cndmask_b32 v36, v36, v50 :: v_dual_lshlrev_b32 v37, 16, v41
	v_cvt_pk_fp8_f32 v44, v47, v47
	v_cvt_pk_fp8_f32 v45, v35, v35
	v_and_b32_e32 v39, 0xff, v39
	v_and_b32_e32 v35, 0xff00, v38
	v_cvt_pk_fp8_f32 v46, v36, v36
	v_perm_b32 v36, v42, v37, 0x4020c0c
	v_and_b32_e32 v37, 0xff, v44
	v_and_b32_e32 v40, 0xff, v45
	v_and_b32_e32 v38, 0xff, v43
	v_lshlrev_b32_e32 v41, 24, v46
	v_or3_b32 v35, v36, v35, v39
	v_lshlrev_b32_e32 v36, 8, v37
	v_lshlrev_b32_e32 v37, 16, v40
	v_cmp_ge_i32_e64 s1, v13, v6
	s_delay_alu instid0(VALU_DEP_2) | instskip(SKIP_1) | instid1(VALU_DEP_1)
	v_or_b32_e32 v37, v41, v37
	s_or_b32 s52, s1, s52
	v_or3_b32 v36, v37, v36, v38
	global_store_b64 v[20:21], v[35:36], off
	v_add_co_u32 v20, vcc_lo, 0x100, v20
	s_wait_alu 0xfffd
	v_add_co_ci_u32_e64 v21, null, 0, v21, vcc_lo
	s_and_not1_b32 exec_lo, exec_lo, s52
	s_cbranch_execnz .LBB18_14
.LBB18_15:                              ;   in Loop: Header=BB18_9 Depth=1
	s_or_b32 exec_lo, exec_lo, s51
	v_lshl_add_u32 v20, v6, 3, v25
	s_mov_b32 s2, exec_lo
	s_delay_alu instid0(VALU_DEP_1)
	v_cmpx_lt_i32_e64 v20, v1
	s_cbranch_execz .LBB18_18
; %bb.16:                               ;   in Loop: Header=BB18_9 Depth=1
	v_ashrrev_i32_e32 v21, 31, v20
	v_add_co_u32 v6, vcc_lo, v18, v9
	s_wait_alu 0xfffd
	v_add_co_ci_u32_e64 v13, null, v19, v10, vcc_lo
	s_delay_alu instid0(VALU_DEP_3) | instskip(SKIP_1) | instid1(VALU_DEP_1)
	v_lshlrev_b64_e32 v[22:23], 1, v[20:21]
	s_mov_b32 s3, 0
	v_add_co_u32 v6, vcc_lo, v6, v22
	s_wait_alu 0xfffd
	s_delay_alu instid0(VALU_DEP_2)
	v_add_co_ci_u32_e64 v13, null, v13, v23, vcc_lo
	v_add_co_u32 v18, vcc_lo, v16, v20
	s_wait_alu 0xfffd
	v_add_co_ci_u32_e64 v19, null, v17, v21, vcc_lo
	v_add_co_u32 v16, vcc_lo, s36, v6
	s_wait_alu 0xfffd
	;; [unrolled: 3-line block ×3, first 2 shown]
	v_add_co_ci_u32_e64 v19, null, v29, v19, vcc_lo
.LBB18_17:                              ;   Parent Loop BB18_9 Depth=1
                                        ; =>  This Inner Loop Header: Depth=2
	global_load_u16 v6, v[16:17], off
	v_add_co_u32 v16, vcc_lo, v16, 64
	s_wait_alu 0xfffd
	v_add_co_ci_u32_e64 v17, null, 0, v17, vcc_lo
	v_dual_mov_b32 v13, 0 :: v_dual_add_nc_u32 v20, 32, v20
	s_delay_alu instid0(VALU_DEP_1)
	v_cmp_ge_i32_e64 s1, v20, v1
	s_wait_alu 0xfffe
	s_or_b32 s3, s1, s3
	s_wait_loadcnt 0x0
	v_cvt_f32_f16_e32 v6, v6
	s_wait_kmcnt 0x0
	s_delay_alu instid0(VALU_DEP_1) | instskip(SKIP_1) | instid1(VALU_DEP_2)
	v_div_scale_f32 v21, null, s46, s46, v6
	v_div_scale_f32 v23, vcc_lo, v6, s46, v6
	v_rcp_f32_e32 v22, v21
	s_delay_alu instid0(TRANS32_DEP_1) | instskip(NEXT) | instid1(VALU_DEP_1)
	v_fma_f32 v35, -v21, v22, 1.0
	v_fmac_f32_e32 v22, v35, v22
	s_delay_alu instid0(VALU_DEP_1) | instskip(NEXT) | instid1(VALU_DEP_1)
	v_mul_f32_e32 v35, v23, v22
	v_fma_f32 v36, -v21, v35, v23
	s_delay_alu instid0(VALU_DEP_1) | instskip(NEXT) | instid1(VALU_DEP_1)
	v_fmac_f32_e32 v35, v36, v22
	v_fma_f32 v21, -v21, v35, v23
	s_wait_alu 0xfffd
	s_delay_alu instid0(VALU_DEP_1) | instskip(NEXT) | instid1(VALU_DEP_1)
	v_div_fmas_f32 v21, v21, v22, v35
	v_div_fixup_f32 v6, v21, s46, v6
	s_delay_alu instid0(VALU_DEP_1) | instskip(NEXT) | instid1(VALU_DEP_1)
	v_cvt_f16_f32_e32 v6, v6
	v_cvt_f32_f16_e32 v6, v6
	s_delay_alu instid0(VALU_DEP_1) | instskip(SKIP_2) | instid1(VALU_DEP_2)
	v_med3_num_f32 v21, v6, s49, 0xc3e00000
	v_cmp_nlg_f32_e64 vcc_lo, 0x7f800000, |v6|
	s_wait_alu 0xfffd
	v_cndmask_b32_e32 v6, v21, v6, vcc_lo
	s_delay_alu instid0(VALU_DEP_1)
	v_cvt_pk_fp8_f32 v13, v6, v6
	global_store_b8 v[18:19], v13, off
	v_add_co_u32 v18, vcc_lo, v18, 32
	s_wait_alu 0xfffd
	v_add_co_ci_u32_e64 v19, null, 0, v19, vcc_lo
	s_wait_alu 0xfffe
	s_and_not1_b32 exec_lo, exec_lo, s3
	s_cbranch_execnz .LBB18_17
.LBB18_18:                              ;   in Loop: Header=BB18_9 Depth=1
	s_wait_alu 0xfffe
	s_or_b32 exec_lo, exec_lo, s2
.LBB18_19:                              ;   in Loop: Header=BB18_9 Depth=1
	s_and_not1_saveexec_b32 s50, s50
	s_cbranch_execz .LBB18_24
; %bb.20:                               ;   in Loop: Header=BB18_9 Depth=1
	s_and_saveexec_b32 s51, s0
	s_cbranch_execz .LBB18_23
; %bb.21:                               ;   in Loop: Header=BB18_9 Depth=1
	v_add_co_u32 v16, vcc_lo, v26, v9
	s_wait_alu 0xfffd
	v_add_co_ci_u32_e64 v17, null, v27, v10, vcc_lo
	v_dual_mov_b32 v19, v4 :: v_dual_mov_b32 v18, v3
	v_mov_b32_e32 v1, v25
	s_mov_b32 s52, 0
.LBB18_22:                              ;   Parent Loop BB18_9 Depth=1
                                        ; =>  This Inner Loop Header: Depth=2
	global_load_b128 v[20:23], v[16:17], off
	v_add_co_u32 v16, vcc_lo, 0x200, v16
	s_wait_alu 0xfffd
	v_add_co_ci_u32_e64 v17, null, 0, v17, vcc_lo
	v_dual_mov_b32 v6, 0 :: v_dual_mov_b32 v13, 0
	v_dual_mov_b32 v35, 0 :: v_dual_mov_b32 v36, 0
	;; [unrolled: 1-line block ×4, first 2 shown]
	s_wait_loadcnt 0x0
	v_lshrrev_b32_e32 v41, 16, v20
	v_cvt_f32_f16_e32 v20, v20
	v_lshrrev_b32_e32 v42, 16, v21
	v_lshrrev_b32_e32 v43, 16, v22
	v_cvt_f32_f16_e32 v21, v21
	v_cvt_f32_f16_e32 v22, v22
	v_lshrrev_b32_e32 v44, 16, v23
	v_cvt_f32_f16_e32 v23, v23
	s_wait_kmcnt 0x0
	v_div_scale_f32 v45, null, s46, s46, v20
	v_cvt_f32_f16_e32 v41, v41
	v_div_scale_f32 v47, null, s46, s46, v21
	v_cvt_f32_f16_e32 v42, v42
	v_div_scale_f32 v49, null, s46, s46, v22
	v_div_scale_f32 v51, null, s46, s46, v23
	v_cvt_f32_f16_e32 v44, v44
	v_rcp_f32_e32 v53, v45
	v_div_scale_f32 v54, null, s46, s46, v41
	v_cvt_f32_f16_e32 v43, v43
	v_rcp_f32_e32 v56, v47
	v_div_scale_f32 v57, null, s46, s46, v42
	v_rcp_f32_e32 v59, v49
	v_rcp_f32_e32 v62, v51
	v_div_scale_f32 v63, null, s46, s46, v44
	v_rcp_f32_e32 v65, v54
	v_div_scale_f32 v60, null, s46, s46, v43
	v_rcp_f32_e32 v66, v57
	s_delay_alu instid0(VALU_DEP_2) | instskip(SKIP_1) | instid1(VALU_DEP_2)
	v_rcp_f32_e32 v68, v63
	v_fma_f32 v69, -v45, v53, 1.0
	v_rcp_f32_e32 v67, v60
	v_fma_f32 v70, -v47, v56, 1.0
	v_fma_f32 v71, -v49, v59, 1.0
	v_div_scale_f32 v46, vcc_lo, v20, s46, v20
	v_fma_f32 v72, -v51, v62, 1.0
	v_fmac_f32_e32 v53, v69, v53
	v_fma_f32 v69, -v54, v65, 1.0
	v_dual_fmac_f32 v56, v70, v56 :: v_dual_add_nc_u32 v1, 32, v1
	v_div_scale_f32 v48, s2, v21, s46, v21
	v_div_scale_f32 v50, s3, v22, s46, v22
	v_fma_f32 v70, -v57, v66, 1.0
	v_fmac_f32_e32 v59, v71, v59
	v_div_scale_f32 v55, s5, v41, s46, v41
	v_fmac_f32_e32 v62, v72, v62
	v_fma_f32 v72, -v63, v68, 1.0
	v_mul_f32_e32 v73, v46, v53
	v_fmac_f32_e32 v65, v69, v65
	v_fma_f32 v71, -v60, v67, 1.0
	v_div_scale_f32 v58, s6, v42, s46, v42
	v_fmac_f32_e32 v66, v70, v66
	v_dual_mul_f32 v70, v50, v59 :: v_dual_mul_f32 v69, v48, v56
	v_mul_f32_e32 v74, v55, v65
	v_fmac_f32_e32 v68, v72, v68
	v_fma_f32 v72, -v45, v73, v46
	v_div_scale_f32 v52, s4, v23, s46, v23
	v_div_scale_f32 v61, s7, v43, s46, v43
	v_dual_fmac_f32 v67, v71, v67 :: v_dual_mul_f32 v76, v58, v66
	v_fma_f32 v75, -v47, v69, v48
	v_fma_f32 v77, -v49, v70, v50
	v_fmac_f32_e32 v73, v72, v53
	v_fma_f32 v72, -v54, v74, v55
	v_div_scale_f32 v64, s8, v44, s46, v44
	v_dual_mul_f32 v71, v52, v62 :: v_dual_mul_f32 v78, v61, v67
	s_delay_alu instid0(VALU_DEP_3)
	v_dual_fmac_f32 v69, v75, v56 :: v_dual_fmac_f32 v74, v72, v65
	v_fma_f32 v75, -v57, v76, v58
	v_fmac_f32_e32 v70, v77, v59
	v_fma_f32 v45, -v45, v73, v46
	v_fma_f32 v79, -v51, v71, v52
	v_mul_f32_e32 v80, v64, v68
	v_fma_f32 v77, -v60, v78, v61
	v_fmac_f32_e32 v76, v75, v66
	v_fma_f32 v46, -v47, v69, v48
	v_fma_f32 v47, -v49, v70, v50
	s_wait_alu 0xfffd
	v_div_fmas_f32 v45, v45, v53, v73
	v_fma_f32 v49, -v54, v74, v55
	v_fmac_f32_e32 v71, v79, v62
	v_fma_f32 v79, -v63, v80, v64
	v_fmac_f32_e32 v78, v77, v67
	s_mov_b32 vcc_lo, s5
	v_fma_f32 v50, -v57, v76, v58
	v_div_fixup_f32 v20, v45, s46, v20
	s_wait_alu 0xfffe
	v_div_fmas_f32 v45, v49, v65, v74
	s_mov_b32 vcc_lo, s2
	v_fmac_f32_e32 v80, v79, v68
	s_wait_alu 0xfffe
	v_div_fmas_f32 v46, v46, v56, v69
	s_mov_b32 vcc_lo, s6
	v_fma_f32 v48, -v51, v71, v52
	v_fma_f32 v51, -v60, v78, v61
	s_wait_alu 0xfffe
	v_div_fmas_f32 v49, v50, v66, v76
	s_mov_b32 vcc_lo, s3
	v_div_fixup_f32 v41, v45, s46, v41
	s_wait_alu 0xfffe
	v_div_fmas_f32 v45, v47, v59, v70
	s_mov_b32 vcc_lo, s7
	v_fma_f32 v52, -v63, v80, v64
	v_cvt_f16_f32_e32 v20, v20
	v_div_fixup_f32 v21, v46, s46, v21
	s_wait_alu 0xfffe
	v_div_fmas_f32 v46, v51, v67, v78
	s_mov_b32 vcc_lo, s4
	v_cvt_f16_f32_e32 v41, v41
	s_wait_alu 0xfffe
	v_div_fmas_f32 v47, v48, v62, v71
	s_mov_b32 vcc_lo, s8
	v_cvt_f32_f16_e32 v20, v20
	v_div_fixup_f32 v22, v45, s46, v22
	v_cvt_f16_f32_e32 v21, v21
	s_wait_alu 0xfffe
	v_div_fmas_f32 v45, v52, v68, v80
	v_div_fixup_f32 v43, v46, s46, v43
	v_med3_num_f32 v46, v20, s49, 0xc3e00000
	v_cmp_nlg_f32_e64 vcc_lo, 0x7f800000, |v20|
	v_cvt_f32_f16_e32 v41, v41
	v_cvt_f16_f32_e32 v22, v22
	v_cvt_f32_f16_e32 v21, v21
	v_div_fixup_f32 v44, v45, s46, v44
	s_wait_alu 0xfffd
	v_cndmask_b32_e32 v20, v46, v20, vcc_lo
	v_med3_num_f32 v45, v41, s49, 0xc3e00000
	v_cmp_nlg_f32_e64 vcc_lo, 0x7f800000, |v41|
	v_cvt_f32_f16_e32 v22, v22
	v_med3_num_f32 v46, v21, s49, 0xc3e00000
	v_cmp_nlg_f32_e64 s2, 0x7f800000, |v21|
	v_cvt_f16_f32_e32 v44, v44
	v_div_fixup_f32 v42, v49, s46, v42
	v_cvt_pk_fp8_f32 v6, v20, v20
	s_wait_alu 0xfffd
	v_cndmask_b32_e32 v20, v45, v41, vcc_lo
	v_med3_num_f32 v41, v22, s49, 0xc3e00000
	v_cmp_nlg_f32_e64 vcc_lo, 0x7f800000, |v22|
	s_wait_alu 0xf1ff
	v_cndmask_b32_e64 v21, v46, v21, s2
	v_cvt_f32_f16_e32 v44, v44
	v_cvt_f16_f32_e32 v42, v42
	v_div_fixup_f32 v23, v47, s46, v23
	s_wait_alu 0xfffd
	v_cndmask_b32_e32 v22, v41, v22, vcc_lo
	v_cvt_pk_fp8_f32 v35, v21, v21
	v_med3_num_f32 v21, v44, s49, 0xc3e00000
	v_cmp_nlg_f32_e64 vcc_lo, 0x7f800000, |v44|
	v_cvt_f32_f16_e32 v42, v42
	v_cvt_f16_f32_e32 v23, v23
	v_and_b32_e32 v6, 0xff, v6
	v_cvt_f16_f32_e32 v43, v43
	s_wait_alu 0xfffd
	v_cndmask_b32_e32 v21, v21, v44, vcc_lo
	v_med3_num_f32 v47, v42, s49, 0xc3e00000
	v_cmp_nlg_f32_e64 s3, 0x7f800000, |v42|
	v_cvt_f32_f16_e32 v23, v23
	v_cvt_f32_f16_e32 v43, v43
	v_cvt_pk_fp8_f32 v40, v21, v21
	v_cvt_pk_fp8_f32 v37, v22, v22
	s_wait_alu 0xf1ff
	v_cndmask_b32_e64 v42, v47, v42, s3
	v_cmp_nlg_f32_e64 s3, 0x7f800000, |v23|
	v_lshlrev_b32_e32 v22, 16, v35
	v_lshlrev_b32_e32 v35, 24, v40
	v_cvt_pk_fp8_f32 v13, v20, v20
	v_med3_num_f32 v20, v23, s49, 0xc3e00000
	v_med3_num_f32 v45, v43, s49, 0xc3e00000
	v_cmp_nlg_f32_e64 s2, 0x7f800000, |v43|
	v_cvt_pk_fp8_f32 v36, v42, v42
	v_lshlrev_b32_e32 v13, 8, v13
	s_wait_alu 0xf1ff
	v_cndmask_b32_e64 v20, v20, v23, s3
	v_and_b32_e32 v23, 0xff, v37
	v_cndmask_b32_e64 v41, v45, v43, s2
	v_cmp_le_i32_e64 s1, s11, v1
	v_and_b32_e32 v13, 0xff00, v13
	v_cvt_pk_fp8_f32 v39, v20, v20
	v_perm_b32 v20, v36, v22, 0x4020c0c
	v_cvt_pk_fp8_f32 v38, v41, v41
	s_or_b32 s52, s1, s52
	s_delay_alu instid0(VALU_DEP_3) | instskip(NEXT) | instid1(VALU_DEP_3)
	v_and_b32_e32 v22, 0xff, v39
	v_or3_b32 v20, v20, v13, v6
	s_delay_alu instid0(VALU_DEP_3) | instskip(NEXT) | instid1(VALU_DEP_3)
	v_and_b32_e32 v21, 0xff, v38
	v_lshlrev_b32_e32 v13, 16, v22
	s_delay_alu instid0(VALU_DEP_2) | instskip(NEXT) | instid1(VALU_DEP_2)
	v_lshlrev_b32_e32 v6, 8, v21
	v_or_b32_e32 v13, v35, v13
	s_delay_alu instid0(VALU_DEP_1)
	v_or3_b32 v21, v13, v6, v23
	global_store_b64 v[18:19], v[20:21], off
	v_add_co_u32 v18, vcc_lo, 0x100, v18
	s_wait_alu 0xfffd
	v_add_co_ci_u32_e64 v19, null, 0, v19, vcc_lo
	s_and_not1_b32 exec_lo, exec_lo, s52
	s_cbranch_execnz .LBB18_22
.LBB18_23:                              ;   in Loop: Header=BB18_9 Depth=1
	s_or_b32 exec_lo, exec_lo, s51
.LBB18_24:                              ;   in Loop: Header=BB18_9 Depth=1
	s_delay_alu instid0(SALU_CYCLE_1) | instskip(SKIP_3) | instid1(VALU_DEP_2)
	s_or_b32 exec_lo, exec_lo, s50
	v_add_co_u32 v6, vcc_lo, s20, v14
	s_wait_alu 0xfffd
	v_add_co_ci_u32_e64 v14, null, s21, v15, vcc_lo
	v_and_b32_e32 v1, 15, v6
	s_delay_alu instid0(VALU_DEP_1)
	v_cmp_ne_u64_e32 vcc_lo, 0, v[1:2]
	s_or_b32 s1, s48, vcc_lo
	s_wait_alu 0xfffe
	s_and_saveexec_b32 s2, s1
	s_wait_alu 0xfffe
	s_xor_b32 s50, exec_lo, s2
	s_cbranch_execz .LBB18_34
; %bb.25:                               ;   in Loop: Header=BB18_9 Depth=1
	v_sub_nc_u32_e32 v1, 0, v6
	s_mov_b32 s1, exec_lo
	s_delay_alu instid0(VALU_DEP_1) | instskip(NEXT) | instid1(VALU_DEP_1)
	v_bfe_u32 v1, v1, 1, 3
	v_min_i32_e32 v13, s29, v1
	s_delay_alu instid0(VALU_DEP_1)
	v_cmpx_lt_i32_e64 v25, v13
	s_cbranch_execz .LBB18_27
; %bb.26:                               ;   in Loop: Header=BB18_9 Depth=1
	v_add_co_u32 v15, vcc_lo, v6, v34
	s_wait_alu 0xfffd
	v_add_co_ci_u32_e64 v16, null, 0, v14, vcc_lo
	global_load_u16 v1, v[15:16], off
	s_wait_loadcnt 0x0
	v_cvt_f32_f16_e32 v1, v1
	s_wait_kmcnt 0x0
	s_delay_alu instid0(VALU_DEP_1) | instskip(SKIP_1) | instid1(VALU_DEP_2)
	v_div_scale_f32 v6, null, s33, s33, v1
	v_div_scale_f32 v16, vcc_lo, v1, s33, v1
	v_rcp_f32_e32 v14, v6
	s_delay_alu instid0(TRANS32_DEP_1) | instskip(NEXT) | instid1(VALU_DEP_1)
	v_fma_f32 v15, -v6, v14, 1.0
	v_fmac_f32_e32 v14, v15, v14
	s_delay_alu instid0(VALU_DEP_1) | instskip(NEXT) | instid1(VALU_DEP_1)
	v_mul_f32_e32 v15, v16, v14
	v_fma_f32 v17, -v6, v15, v16
	s_delay_alu instid0(VALU_DEP_1) | instskip(NEXT) | instid1(VALU_DEP_1)
	v_fmac_f32_e32 v15, v17, v14
	v_fma_f32 v6, -v6, v15, v16
	s_wait_alu 0xfffd
	s_delay_alu instid0(VALU_DEP_1) | instskip(SKIP_3) | instid1(VALU_DEP_3)
	v_div_fmas_f32 v6, v6, v14, v15
	v_add_co_u32 v11, vcc_lo, s34, v11
	s_wait_alu 0xfffd
	v_add_co_ci_u32_e64 v12, null, s35, v12, vcc_lo
	v_div_fixup_f32 v1, v6, s33, v1
	s_delay_alu instid0(VALU_DEP_1) | instskip(NEXT) | instid1(VALU_DEP_1)
	v_cvt_f16_f32_e32 v1, v1
	v_cvt_f32_f16_e32 v1, v1
	s_delay_alu instid0(VALU_DEP_1) | instskip(SKIP_2) | instid1(VALU_DEP_2)
	v_med3_num_f32 v6, v1, s49, 0xc3e00000
	v_cmp_nlg_f32_e64 vcc_lo, 0x7f800000, |v1|
	s_wait_alu 0xfffd
	v_cndmask_b32_e32 v1, v6, v1, vcc_lo
	v_mov_b32_e32 v6, v2
	v_add_co_u32 v11, vcc_lo, v11, v25
	s_wait_alu 0xfffd
	v_add_co_ci_u32_e64 v12, null, 0, v12, vcc_lo
	s_delay_alu instid0(VALU_DEP_3)
	v_cvt_pk_fp8_f32 v6, v1, v1
	global_store_b8 v[11:12], v6, off
.LBB18_27:                              ;   in Loop: Header=BB18_9 Depth=1
	s_wait_alu 0xfffe
	s_or_b32 exec_lo, exec_lo, s1
	v_sub_nc_u32_e32 v1, s29, v13
	v_ashrrev_i32_e32 v14, 31, v13
	s_mov_b32 s51, exec_lo
	s_delay_alu instid0(VALU_DEP_2) | instskip(NEXT) | instid1(VALU_DEP_2)
	v_ashrrev_i32_e32 v6, 31, v1
	v_lshlrev_b64_e32 v[11:12], 1, v[13:14]
	s_delay_alu instid0(VALU_DEP_2) | instskip(NEXT) | instid1(VALU_DEP_1)
	v_lshrrev_b32_e32 v6, 29, v6
	v_add_nc_u32_e32 v6, v1, v6
	s_delay_alu instid0(VALU_DEP_1) | instskip(NEXT) | instid1(VALU_DEP_1)
	v_ashrrev_i32_e32 v6, 3, v6
	v_cmpx_lt_i32_e64 v25, v6
	s_cbranch_execz .LBB18_30
; %bb.28:                               ;   in Loop: Header=BB18_9 Depth=1
	v_add_co_u32 v17, vcc_lo, v11, v9
	s_wait_alu 0xfffd
	v_add_co_ci_u32_e64 v18, null, v12, v10, vcc_lo
	v_add_co_u32 v15, vcc_lo, v7, v13
	s_wait_alu 0xfffd
	v_add_co_ci_u32_e64 v16, null, v8, v14, vcc_lo
	;; [unrolled: 3-line block ×3, first 2 shown]
	v_mov_b32_e32 v19, v25
	s_mov_b32 s52, 0
.LBB18_29:                              ;   Parent Loop BB18_9 Depth=1
                                        ; =>  This Inner Loop Header: Depth=2
	global_load_b128 v[20:23], v[17:18], off
	v_add_co_u32 v17, vcc_lo, 0x200, v17
	s_wait_alu 0xfffd
	v_add_co_ci_u32_e64 v18, null, 0, v18, vcc_lo
	v_dual_mov_b32 v35, 0 :: v_dual_mov_b32 v36, 0
	v_dual_mov_b32 v37, 0 :: v_dual_mov_b32 v38, 0
	;; [unrolled: 1-line block ×4, first 2 shown]
	s_wait_loadcnt 0x0
	v_lshrrev_b32_e32 v43, 16, v20
	v_cvt_f32_f16_e32 v20, v20
	v_lshrrev_b32_e32 v44, 16, v21
	v_lshrrev_b32_e32 v45, 16, v22
	v_cvt_f32_f16_e32 v21, v21
	v_cvt_f32_f16_e32 v22, v22
	v_lshrrev_b32_e32 v46, 16, v23
	v_cvt_f32_f16_e32 v23, v23
	s_wait_kmcnt 0x0
	v_div_scale_f32 v47, null, s33, s33, v20
	v_cvt_f32_f16_e32 v43, v43
	v_div_scale_f32 v49, null, s33, s33, v21
	v_cvt_f32_f16_e32 v44, v44
	v_div_scale_f32 v51, null, s33, s33, v22
	v_div_scale_f32 v53, null, s33, s33, v23
	v_cvt_f32_f16_e32 v46, v46
	v_rcp_f32_e32 v55, v47
	v_div_scale_f32 v56, null, s33, s33, v43
	v_cvt_f32_f16_e32 v45, v45
	v_rcp_f32_e32 v58, v49
	v_div_scale_f32 v59, null, s33, s33, v44
	v_rcp_f32_e32 v61, v51
	v_rcp_f32_e32 v64, v53
	v_div_scale_f32 v65, null, s33, s33, v46
	v_rcp_f32_e32 v67, v56
	v_div_scale_f32 v62, null, s33, s33, v45
	v_rcp_f32_e32 v68, v59
	s_delay_alu instid0(VALU_DEP_2) | instskip(SKIP_1) | instid1(VALU_DEP_2)
	v_rcp_f32_e32 v70, v65
	v_fma_f32 v71, -v47, v55, 1.0
	v_rcp_f32_e32 v69, v62
	v_fma_f32 v72, -v49, v58, 1.0
	v_fma_f32 v73, -v51, v61, 1.0
	v_div_scale_f32 v48, vcc_lo, v20, s33, v20
	v_fma_f32 v74, -v53, v64, 1.0
	v_fmac_f32_e32 v55, v71, v55
	v_fma_f32 v71, -v56, v67, 1.0
	v_dual_fmac_f32 v58, v72, v58 :: v_dual_add_nc_u32 v19, 32, v19
	v_div_scale_f32 v50, s2, v21, s33, v21
	v_div_scale_f32 v52, s3, v22, s33, v22
	v_fma_f32 v72, -v59, v68, 1.0
	v_fmac_f32_e32 v61, v73, v61
	v_div_scale_f32 v57, s5, v43, s33, v43
	v_fmac_f32_e32 v64, v74, v64
	v_fma_f32 v74, -v65, v70, 1.0
	v_mul_f32_e32 v75, v48, v55
	v_fmac_f32_e32 v67, v71, v67
	v_fma_f32 v73, -v62, v69, 1.0
	v_div_scale_f32 v60, s6, v44, s33, v44
	v_fmac_f32_e32 v68, v72, v68
	v_dual_mul_f32 v72, v52, v61 :: v_dual_mul_f32 v71, v50, v58
	v_mul_f32_e32 v76, v57, v67
	v_fmac_f32_e32 v70, v74, v70
	v_fma_f32 v74, -v47, v75, v48
	v_div_scale_f32 v54, s4, v23, s33, v23
	v_div_scale_f32 v63, s7, v45, s33, v45
	v_dual_fmac_f32 v69, v73, v69 :: v_dual_mul_f32 v78, v60, v68
	v_fma_f32 v77, -v49, v71, v50
	v_fma_f32 v79, -v51, v72, v52
	v_fmac_f32_e32 v75, v74, v55
	v_fma_f32 v74, -v56, v76, v57
	v_div_scale_f32 v66, s8, v46, s33, v46
	v_dual_mul_f32 v73, v54, v64 :: v_dual_mul_f32 v80, v63, v69
	s_delay_alu instid0(VALU_DEP_3)
	v_dual_fmac_f32 v71, v77, v58 :: v_dual_fmac_f32 v76, v74, v67
	v_fma_f32 v77, -v59, v78, v60
	v_fmac_f32_e32 v72, v79, v61
	v_fma_f32 v47, -v47, v75, v48
	v_fma_f32 v81, -v53, v73, v54
	v_mul_f32_e32 v82, v66, v70
	v_fma_f32 v79, -v62, v80, v63
	v_fmac_f32_e32 v78, v77, v68
	v_fma_f32 v48, -v49, v71, v50
	v_fma_f32 v49, -v51, v72, v52
	s_wait_alu 0xfffd
	v_div_fmas_f32 v47, v47, v55, v75
	v_fma_f32 v51, -v56, v76, v57
	v_fmac_f32_e32 v73, v81, v64
	v_fma_f32 v81, -v65, v82, v66
	v_fmac_f32_e32 v80, v79, v69
	s_mov_b32 vcc_lo, s5
	v_fma_f32 v52, -v59, v78, v60
	v_div_fixup_f32 v20, v47, s33, v20
	s_wait_alu 0xfffe
	v_div_fmas_f32 v47, v51, v67, v76
	s_mov_b32 vcc_lo, s2
	v_fmac_f32_e32 v82, v81, v70
	s_wait_alu 0xfffe
	v_div_fmas_f32 v48, v48, v58, v71
	s_mov_b32 vcc_lo, s6
	v_fma_f32 v50, -v53, v73, v54
	v_fma_f32 v53, -v62, v80, v63
	s_wait_alu 0xfffe
	v_div_fmas_f32 v51, v52, v68, v78
	s_mov_b32 vcc_lo, s3
	v_div_fixup_f32 v43, v47, s33, v43
	s_wait_alu 0xfffe
	v_div_fmas_f32 v47, v49, v61, v72
	s_mov_b32 vcc_lo, s7
	v_fma_f32 v54, -v65, v82, v66
	v_div_fixup_f32 v21, v48, s33, v21
	s_wait_alu 0xfffe
	v_div_fmas_f32 v48, v53, v69, v80
	s_mov_b32 vcc_lo, s4
	v_cvt_f16_f32_e32 v20, v20
	s_wait_alu 0xfffe
	v_div_fmas_f32 v49, v50, v64, v73
	s_mov_b32 vcc_lo, s8
	v_div_fixup_f32 v22, v47, s33, v22
	s_wait_alu 0xfffe
	v_div_fmas_f32 v47, v54, v70, v82
	v_cvt_f32_f16_e32 v20, v20
	v_cvt_f16_f32_e32 v43, v43
	v_cvt_f16_f32_e32 v21, v21
	v_div_fixup_f32 v45, v48, s33, v45
	v_div_fixup_f32 v46, v47, s33, v46
	v_med3_num_f32 v48, v20, s49, 0xc3e00000
	v_cmp_nlg_f32_e64 vcc_lo, 0x7f800000, |v20|
	v_cvt_f32_f16_e32 v43, v43
	v_cvt_f16_f32_e32 v22, v22
	v_cvt_f32_f16_e32 v21, v21
	v_cvt_f16_f32_e32 v46, v46
	v_div_fixup_f32 v44, v51, s33, v44
	v_med3_num_f32 v47, v43, s49, 0xc3e00000
	v_cvt_f32_f16_e32 v22, v22
	v_cmp_nlg_f32_e64 s2, 0x7f800000, |v21|
	v_cvt_f32_f16_e32 v46, v46
	s_wait_alu 0xfffd
	v_cndmask_b32_e32 v20, v48, v20, vcc_lo
	v_cmp_nlg_f32_e64 vcc_lo, 0x7f800000, |v43|
	v_med3_num_f32 v48, v21, s49, 0xc3e00000
	v_cvt_f16_f32_e32 v44, v44
	v_div_fixup_f32 v23, v49, s33, v23
	v_cvt_pk_fp8_f32 v35, v20, v20
	s_wait_alu 0xfffd
	v_cndmask_b32_e32 v20, v47, v43, vcc_lo
	v_med3_num_f32 v43, v22, s49, 0xc3e00000
	v_cmp_nlg_f32_e64 vcc_lo, 0x7f800000, |v22|
	s_wait_alu 0xf1ff
	v_cndmask_b32_e64 v21, v48, v21, s2
	v_cvt_f16_f32_e32 v45, v45
	v_cvt_f32_f16_e32 v44, v44
	v_cvt_f16_f32_e32 v23, v23
	s_wait_alu 0xfffd
	v_cndmask_b32_e32 v22, v43, v22, vcc_lo
	v_cvt_pk_fp8_f32 v37, v21, v21
	v_med3_num_f32 v21, v46, s49, 0xc3e00000
	v_cmp_nlg_f32_e64 vcc_lo, 0x7f800000, |v46|
	v_cvt_f32_f16_e32 v45, v45
	v_med3_num_f32 v49, v44, s49, 0xc3e00000
	v_cmp_nlg_f32_e64 s3, 0x7f800000, |v44|
	v_cvt_f32_f16_e32 v23, v23
	s_wait_alu 0xfffd
	v_cndmask_b32_e32 v21, v21, v46, vcc_lo
	v_med3_num_f32 v47, v45, s49, 0xc3e00000
	v_cmp_nlg_f32_e64 s2, 0x7f800000, |v45|
	s_wait_alu 0xf1ff
	v_cndmask_b32_e64 v44, v49, v44, s3
	v_cmp_nlg_f32_e64 s3, 0x7f800000, |v23|
	v_cvt_pk_fp8_f32 v42, v21, v21
	v_cvt_pk_fp8_f32 v39, v22, v22
	v_lshlrev_b32_e32 v22, 16, v37
	v_cndmask_b32_e64 v43, v47, v45, s2
	v_cvt_pk_fp8_f32 v38, v44, v44
	v_lshlrev_b32_e32 v37, 24, v42
	v_cvt_pk_fp8_f32 v36, v20, v20
	v_med3_num_f32 v20, v23, s49, 0xc3e00000
	v_cvt_pk_fp8_f32 v40, v43, v43
	v_and_b32_e32 v35, 0xff, v35
	v_perm_b32 v21, v38, v22, 0x4020c0c
	v_cmp_ge_i32_e64 s1, v19, v6
	s_wait_alu 0xf1ff
	v_cndmask_b32_e64 v20, v20, v23, s3
	v_lshlrev_b32_e32 v23, 8, v36
	v_and_b32_e32 v22, 0xff, v40
	s_or_b32 s52, s1, s52
	s_delay_alu instid0(VALU_DEP_3) | instskip(NEXT) | instid1(VALU_DEP_3)
	v_cvt_pk_fp8_f32 v41, v20, v20
	v_and_b32_e32 v20, 0xff00, v23
	v_and_b32_e32 v23, 0xff, v39
	s_delay_alu instid0(VALU_DEP_3) | instskip(NEXT) | instid1(VALU_DEP_3)
	v_and_b32_e32 v36, 0xff, v41
	v_or3_b32 v20, v21, v20, v35
	v_lshlrev_b32_e32 v21, 8, v22
	s_delay_alu instid0(VALU_DEP_3) | instskip(NEXT) | instid1(VALU_DEP_1)
	v_lshlrev_b32_e32 v22, 16, v36
	v_or_b32_e32 v22, v37, v22
	s_delay_alu instid0(VALU_DEP_1)
	v_or3_b32 v21, v22, v21, v23
	global_store_b64 v[15:16], v[20:21], off
	v_add_co_u32 v15, vcc_lo, 0x100, v15
	s_wait_alu 0xfffd
	v_add_co_ci_u32_e64 v16, null, 0, v16, vcc_lo
	s_and_not1_b32 exec_lo, exec_lo, s52
	s_cbranch_execnz .LBB18_29
.LBB18_30:                              ;   in Loop: Header=BB18_9 Depth=1
	s_or_b32 exec_lo, exec_lo, s51
	v_lshl_add_u32 v15, v6, 3, v25
	s_mov_b32 s2, exec_lo
	s_delay_alu instid0(VALU_DEP_1)
	v_cmpx_lt_i32_e64 v15, v1
	s_cbranch_execz .LBB18_33
; %bb.31:                               ;   in Loop: Header=BB18_9 Depth=1
	v_ashrrev_i32_e32 v16, 31, v15
	v_add_co_u32 v6, vcc_lo, v11, v9
	s_wait_alu 0xfffd
	v_add_co_ci_u32_e64 v9, null, v12, v10, vcc_lo
	s_delay_alu instid0(VALU_DEP_3) | instskip(SKIP_1) | instid1(VALU_DEP_1)
	v_lshlrev_b64_e32 v[17:18], 1, v[15:16]
	s_mov_b32 s3, 0
	v_add_co_u32 v6, vcc_lo, v6, v17
	s_wait_alu 0xfffd
	s_delay_alu instid0(VALU_DEP_2)
	v_add_co_ci_u32_e64 v10, null, v9, v18, vcc_lo
	v_add_co_u32 v11, vcc_lo, v13, v15
	s_wait_alu 0xfffd
	v_add_co_ci_u32_e64 v12, null, v14, v16, vcc_lo
	v_add_co_u32 v9, vcc_lo, s20, v6
	s_wait_alu 0xfffd
	;; [unrolled: 3-line block ×3, first 2 shown]
	v_add_co_ci_u32_e64 v12, null, v33, v12, vcc_lo
.LBB18_32:                              ;   Parent Loop BB18_9 Depth=1
                                        ; =>  This Inner Loop Header: Depth=2
	global_load_u16 v6, v[9:10], off
	v_add_co_u32 v9, vcc_lo, v9, 64
	s_wait_alu 0xfffd
	v_add_co_ci_u32_e64 v10, null, 0, v10, vcc_lo
	s_wait_loadcnt 0x0
	v_cvt_f32_f16_e32 v6, v6
	s_wait_kmcnt 0x0
	s_delay_alu instid0(VALU_DEP_1) | instskip(SKIP_1) | instid1(VALU_DEP_2)
	v_div_scale_f32 v14, null, s33, s33, v6
	v_div_scale_f32 v17, vcc_lo, v6, s33, v6
	v_rcp_f32_e32 v16, v14
	s_delay_alu instid0(TRANS32_DEP_1) | instskip(NEXT) | instid1(VALU_DEP_1)
	v_fma_f32 v18, -v14, v16, 1.0
	v_dual_mov_b32 v13, 0 :: v_dual_fmac_f32 v16, v18, v16
	s_delay_alu instid0(VALU_DEP_1) | instskip(NEXT) | instid1(VALU_DEP_1)
	v_dual_mul_f32 v18, v17, v16 :: v_dual_add_nc_u32 v15, 32, v15
	v_cmp_ge_i32_e64 s1, v15, v1
	s_delay_alu instid0(VALU_DEP_2) | instskip(SKIP_2) | instid1(VALU_DEP_1)
	v_fma_f32 v19, -v14, v18, v17
	s_wait_alu 0xfffe
	s_or_b32 s3, s1, s3
	v_fmac_f32_e32 v18, v19, v16
	s_delay_alu instid0(VALU_DEP_1) | instskip(SKIP_1) | instid1(VALU_DEP_1)
	v_fma_f32 v14, -v14, v18, v17
	s_wait_alu 0xfffd
	v_div_fmas_f32 v14, v14, v16, v18
	s_delay_alu instid0(VALU_DEP_1) | instskip(NEXT) | instid1(VALU_DEP_1)
	v_div_fixup_f32 v6, v14, s33, v6
	v_cvt_f16_f32_e32 v6, v6
	s_delay_alu instid0(VALU_DEP_1) | instskip(NEXT) | instid1(VALU_DEP_1)
	v_cvt_f32_f16_e32 v6, v6
	v_med3_num_f32 v14, v6, s49, 0xc3e00000
	v_cmp_nlg_f32_e64 vcc_lo, 0x7f800000, |v6|
	s_wait_alu 0xfffd
	s_delay_alu instid0(VALU_DEP_2) | instskip(NEXT) | instid1(VALU_DEP_1)
	v_cndmask_b32_e32 v6, v14, v6, vcc_lo
	v_cvt_pk_fp8_f32 v13, v6, v6
	global_store_b8 v[11:12], v13, off
	v_add_co_u32 v11, vcc_lo, v11, 32
	s_wait_alu 0xfffd
	v_add_co_ci_u32_e64 v12, null, 0, v12, vcc_lo
	s_wait_alu 0xfffe
	s_and_not1_b32 exec_lo, exec_lo, s3
	s_cbranch_execnz .LBB18_32
.LBB18_33:                              ;   in Loop: Header=BB18_9 Depth=1
	s_wait_alu 0xfffe
	s_or_b32 exec_lo, exec_lo, s2
                                        ; implicit-def: $vgpr9_vgpr10
.LBB18_34:                              ;   in Loop: Header=BB18_9 Depth=1
	s_and_not1_saveexec_b32 s50, s50
	s_cbranch_execz .LBB18_8
; %bb.35:                               ;   in Loop: Header=BB18_9 Depth=1
	s_and_saveexec_b32 s51, s0
	s_cbranch_execz .LBB18_7
; %bb.36:                               ;   in Loop: Header=BB18_9 Depth=1
	v_add_co_u32 v9, vcc_lo, v30, v9
	s_wait_alu 0xfffd
	v_add_co_ci_u32_e64 v10, null, v31, v10, vcc_lo
	v_dual_mov_b32 v12, v8 :: v_dual_mov_b32 v11, v7
	v_mov_b32_e32 v1, v25
	s_mov_b32 s52, 0
.LBB18_37:                              ;   Parent Loop BB18_9 Depth=1
                                        ; =>  This Inner Loop Header: Depth=2
	global_load_b128 v[13:16], v[9:10], off
	v_add_co_u32 v9, vcc_lo, 0x200, v9
	s_wait_alu 0xfffd
	v_add_co_ci_u32_e64 v10, null, 0, v10, vcc_lo
	v_dual_mov_b32 v6, 0 :: v_dual_mov_b32 v17, 0
	v_dual_mov_b32 v18, 0 :: v_dual_mov_b32 v19, 0
	;; [unrolled: 1-line block ×4, first 2 shown]
	s_wait_loadcnt 0x0
	v_lshrrev_b32_e32 v35, 16, v13
	v_cvt_f32_f16_e32 v13, v13
	v_lshrrev_b32_e32 v36, 16, v14
	v_lshrrev_b32_e32 v37, 16, v15
	;; [unrolled: 1-line block ×3, first 2 shown]
	v_cvt_f32_f16_e32 v14, v14
	v_cvt_f32_f16_e32 v15, v15
	;; [unrolled: 1-line block ×3, first 2 shown]
	s_wait_kmcnt 0x0
	v_div_scale_f32 v39, null, s33, s33, v13
	v_cvt_f32_f16_e32 v35, v35
	v_div_scale_f32 v41, null, s33, s33, v14
	v_cvt_f32_f16_e32 v36, v36
	v_div_scale_f32 v43, null, s33, s33, v15
	v_div_scale_f32 v45, null, s33, s33, v16
	v_cvt_f32_f16_e32 v38, v38
	v_rcp_f32_e32 v47, v39
	v_div_scale_f32 v48, null, s33, s33, v35
	v_rcp_f32_e32 v50, v41
	v_div_scale_f32 v51, null, s33, s33, v36
	v_rcp_f32_e32 v53, v43
	v_rcp_f32_e32 v56, v45
	v_div_scale_f32 v57, null, s33, s33, v38
	v_rcp_f32_e32 v59, v48
	v_rcp_f32_e32 v60, v51
	v_fma_f32 v63, -v39, v47, 1.0
	s_delay_alu instid0(VALU_DEP_2)
	v_rcp_f32_e32 v62, v57
	v_div_scale_f32 v40, vcc_lo, v13, s33, v13
	v_fma_f32 v64, -v41, v50, 1.0
	v_fma_f32 v65, -v43, v53, 1.0
	;; [unrolled: 1-line block ×3, first 2 shown]
	v_fmac_f32_e32 v47, v63, v47
	v_cvt_f32_f16_e32 v37, v37
	v_dual_fmac_f32 v50, v64, v50 :: v_dual_add_nc_u32 v1, 32, v1
	v_div_scale_f32 v44, s3, v15, s33, v15
	v_fma_f32 v63, -v48, v59, 1.0
	v_fma_f32 v64, -v51, v60, 1.0
	v_dual_fmac_f32 v53, v65, v53 :: v_dual_fmac_f32 v56, v66, v56
	v_fma_f32 v66, -v57, v62, 1.0
	v_mul_f32_e32 v67, v40, v47
	v_div_scale_f32 v54, null, s33, s33, v37
	v_dual_fmac_f32 v59, v63, v59 :: v_dual_fmac_f32 v60, v64, v60
	v_mul_f32_e32 v64, v44, v53
	v_fmac_f32_e32 v62, v66, v62
	v_fma_f32 v66, -v39, v67, v40
	v_div_scale_f32 v42, s2, v14, s33, v14
	v_div_scale_f32 v49, s5, v35, s33, v35
	v_rcp_f32_e32 v61, v54
	v_fma_f32 v71, -v43, v64, v44
	v_fmac_f32_e32 v67, v66, v47
	s_delay_alu instid0(VALU_DEP_3) | instskip(SKIP_1) | instid1(VALU_DEP_4)
	v_dual_mul_f32 v63, v42, v50 :: v_dual_mul_f32 v68, v49, v59
	v_div_scale_f32 v52, s6, v36, s33, v36
	v_fmac_f32_e32 v64, v71, v53
	s_delay_alu instid0(VALU_DEP_4) | instskip(NEXT) | instid1(VALU_DEP_4)
	v_fma_f32 v39, -v39, v67, v40
	v_fma_f32 v69, -v41, v63, v42
	;; [unrolled: 1-line block ×3, first 2 shown]
	s_delay_alu instid0(TRANS32_DEP_1)
	v_fma_f32 v65, -v54, v61, 1.0
	v_div_scale_f32 v46, s4, v16, s33, v16
	s_wait_alu 0xfffd
	v_div_fmas_f32 v39, v39, v47, v67
	v_dual_fmac_f32 v63, v69, v50 :: v_dual_fmac_f32 v68, v66, v59
	v_div_scale_f32 v55, s7, v37, s33, v37
	v_dual_fmac_f32 v61, v65, v61 :: v_dual_mul_f32 v70, v52, v60
	s_delay_alu instid0(VALU_DEP_4) | instskip(NEXT) | instid1(VALU_DEP_4)
	v_div_fixup_f32 v13, v39, s33, v13
	v_fma_f32 v40, -v41, v63, v42
	v_fma_f32 v41, -v43, v64, v44
	;; [unrolled: 1-line block ×3, first 2 shown]
	v_dual_mul_f32 v65, v46, v56 :: v_dual_mul_f32 v72, v55, v61
	s_mov_b32 vcc_lo, s5
	v_fma_f32 v69, -v51, v70, v52
	v_cvt_f16_f32_e32 v13, v13
	v_div_scale_f32 v58, s8, v38, s33, v38
	s_wait_alu 0xfffe
	v_div_fmas_f32 v39, v43, v59, v68
	v_fma_f32 v73, -v45, v65, v46
	v_fma_f32 v71, -v54, v72, v55
	v_cvt_f32_f16_e32 v13, v13
	v_fmac_f32_e32 v70, v69, v60
	s_delay_alu instid0(VALU_DEP_4) | instskip(SKIP_2) | instid1(VALU_DEP_4)
	v_dual_mul_f32 v74, v58, v62 :: v_dual_fmac_f32 v65, v73, v56
	v_div_fixup_f32 v35, v39, s33, v35
	v_fmac_f32_e32 v72, v71, v61
	v_fma_f32 v44, -v51, v70, v52
	s_delay_alu instid0(VALU_DEP_4)
	v_fma_f32 v73, -v57, v74, v58
	s_mov_b32 vcc_lo, s2
	v_cvt_f16_f32_e32 v35, v35
	s_wait_alu 0xfffe
	v_div_fmas_f32 v40, v40, v50, v63
	s_mov_b32 vcc_lo, s6
	v_fma_f32 v42, -v45, v65, v46
	v_fma_f32 v45, -v54, v72, v55
	s_wait_alu 0xfffe
	v_div_fmas_f32 v43, v44, v60, v70
	s_mov_b32 vcc_lo, s3
	v_cvt_f32_f16_e32 v35, v35
	v_fmac_f32_e32 v74, v73, v62
	s_wait_alu 0xfffe
	v_div_fmas_f32 v39, v41, v53, v64
	s_mov_b32 vcc_lo, s7
	v_div_fixup_f32 v14, v40, s33, v14
	s_wait_alu 0xfffe
	v_div_fmas_f32 v40, v45, v61, v72
	s_mov_b32 vcc_lo, s4
	v_fma_f32 v46, -v57, v74, v58
	v_div_fixup_f32 v36, v43, s33, v36
	s_wait_alu 0xfffe
	v_div_fmas_f32 v41, v42, v56, v65
	s_mov_b32 vcc_lo, s8
	v_div_fixup_f32 v15, v39, s33, v15
	v_cvt_f16_f32_e32 v14, v14
	s_wait_alu 0xfffe
	v_div_fmas_f32 v39, v46, v62, v74
	v_div_fixup_f32 v37, v40, s33, v37
	v_cvt_f16_f32_e32 v36, v36
	v_med3_num_f32 v40, v13, s49, 0xc3e00000
	v_cmp_nlg_f32_e64 vcc_lo, 0x7f800000, |v13|
	v_div_fixup_f32 v16, v41, s33, v16
	v_cvt_f16_f32_e32 v15, v15
	v_cvt_f32_f16_e32 v14, v14
	v_div_fixup_f32 v38, v39, s33, v38
	v_cvt_f32_f16_e32 v36, v36
	s_wait_alu 0xfffd
	v_cndmask_b32_e32 v13, v40, v13, vcc_lo
	v_med3_num_f32 v39, v35, s49, 0xc3e00000
	v_cmp_nlg_f32_e64 vcc_lo, 0x7f800000, |v35|
	v_cvt_f16_f32_e32 v16, v16
	v_cvt_f16_f32_e32 v37, v37
	v_cvt_f32_f16_e32 v15, v15
	v_med3_num_f32 v40, v14, s49, 0xc3e00000
	v_cmp_nlg_f32_e64 s2, 0x7f800000, |v14|
	v_cvt_f16_f32_e32 v38, v38
	v_med3_num_f32 v41, v36, s49, 0xc3e00000
	v_cmp_nlg_f32_e64 s3, 0x7f800000, |v36|
	v_cvt_pk_fp8_f32 v6, v13, v13
	s_wait_alu 0xfffd
	v_cndmask_b32_e32 v13, v39, v35, vcc_lo
	v_cvt_f32_f16_e32 v16, v16
	v_cvt_f32_f16_e32 v37, v37
	v_med3_num_f32 v35, v15, s49, 0xc3e00000
	v_cmp_nlg_f32_e64 vcc_lo, 0x7f800000, |v15|
	s_wait_alu 0xf1ff
	v_cndmask_b32_e64 v14, v40, v14, s2
	v_cvt_f32_f16_e32 v38, v38
	v_cndmask_b32_e64 v36, v41, v36, s3
	v_cvt_pk_fp8_f32 v17, v13, v13
	v_med3_num_f32 v13, v16, s49, 0xc3e00000
	v_cmp_nlg_f32_e64 s3, 0x7f800000, |v16|
	v_med3_num_f32 v39, v37, s49, 0xc3e00000
	v_cmp_nlg_f32_e64 s2, 0x7f800000, |v37|
	s_wait_alu 0xfffd
	v_dual_cndmask_b32 v15, v35, v15 :: v_dual_and_b32 v6, 0xff, v6
	v_cvt_pk_fp8_f32 v18, v14, v14
	v_med3_num_f32 v14, v38, s49, 0xc3e00000
	v_cmp_nlg_f32_e64 vcc_lo, 0x7f800000, |v38|
	s_wait_alu 0xf1ff
	v_cndmask_b32_e64 v13, v13, v16, s3
	v_cndmask_b32_e64 v35, v39, v37, s2
	v_cvt_pk_fp8_f32 v19, v36, v36
	v_lshlrev_b32_e32 v16, 8, v17
	v_cvt_pk_fp8_f32 v20, v15, v15
	s_wait_alu 0xfffd
	v_cndmask_b32_e32 v14, v14, v38, vcc_lo
	v_lshlrev_b32_e32 v15, 16, v18
	v_cvt_pk_fp8_f32 v22, v13, v13
	v_cvt_pk_fp8_f32 v21, v35, v35
	v_and_b32_e32 v13, 0xff00, v16
	v_cvt_pk_fp8_f32 v23, v14, v14
	v_perm_b32 v14, v19, v15, 0x4020c0c
	v_and_b32_e32 v17, 0xff, v22
	v_and_b32_e32 v15, 0xff, v21
	;; [unrolled: 1-line block ×3, first 2 shown]
	v_lshlrev_b32_e32 v18, 24, v23
	v_or3_b32 v13, v14, v13, v6
	v_lshlrev_b32_e32 v14, 16, v17
	v_lshlrev_b32_e32 v6, 8, v15
	v_cmp_le_i32_e64 s1, s11, v1
	s_delay_alu instid0(VALU_DEP_3) | instskip(SKIP_1) | instid1(VALU_DEP_1)
	v_or_b32_e32 v14, v18, v14
	s_or_b32 s52, s1, s52
	v_or3_b32 v14, v14, v6, v16
	global_store_b64 v[11:12], v[13:14], off
	v_add_co_u32 v11, vcc_lo, 0x100, v11
	s_wait_alu 0xfffd
	v_add_co_ci_u32_e64 v12, null, 0, v12, vcc_lo
	s_and_not1_b32 exec_lo, exec_lo, s52
	s_cbranch_execnz .LBB18_37
	s_branch .LBB18_7
.LBB18_38:
	s_or_b32 exec_lo, exec_lo, s9
	s_mov_b32 s0, 0
.LBB18_39:
	s_wait_alu 0xfffe
	s_and_not1_b32 vcc_lo, exec_lo, s0
	s_wait_alu 0xfffe
	s_cbranch_vccnz .LBB18_71
; %bb.40:
	s_and_b32 s0, s36, 15
	s_mov_b32 s1, 0
	s_mul_i32 s28, s29, s28
	s_wait_alu 0xfffe
	s_cmp_lg_u64 s[0:1], 0
	s_cselect_b32 s0, -1, 0
	s_and_b32 s1, s28, 7
	s_wait_alu 0xfffe
	s_cmp_eq_u32 s1, 0
	s_cselect_b32 s29, -1, 0
	s_cmp_lg_u32 s1, 0
	s_cselect_b32 s1, -1, 0
	s_wait_alu 0xfffe
	s_or_b32 s0, s0, s1
	s_wait_alu 0xfffe
	s_and_b32 vcc_lo, exec_lo, s0
	s_mov_b32 s0, -1
	s_wait_alu 0xfffe
	s_cbranch_vccz .LBB18_51
; %bb.41:
	s_sub_co_i32 s0, 0, s36
	s_mov_b32 s1, exec_lo
	s_wait_alu 0xfffe
	s_bfe_u32 s0, s0, 0x30001
	s_wait_alu 0xfffe
	s_min_i32 s8, s0, s28
	s_delay_alu instid0(SALU_CYCLE_1)
	v_cmpx_gt_i32_e64 s8, v0
	s_cbranch_execz .LBB18_44
; %bb.42:
	v_dual_mov_b32 v1, 0 :: v_dual_lshlrev_b32 v2, 1, v0
	s_mov_b32 s2, 0
	s_lshl_b32 s3, s10, 1
	s_mov_b32 s4, 0x43e00000
	s_delay_alu instid0(VALU_DEP_1)
	v_add_co_u32 v2, s0, s36, v2
	s_wait_alu 0xf1ff
	v_add_co_ci_u32_e64 v3, null, s37, 0, s0
	v_dual_mov_b32 v5, v1 :: v_dual_mov_b32 v4, v0
.LBB18_43:                              ; =>This Inner Loop Header: Depth=1
	global_load_u16 v1, v[2:3], off
	s_wait_loadcnt 0x0
	v_cvt_f32_f16_e32 v1, v1
	s_wait_kmcnt 0x0
	s_delay_alu instid0(VALU_DEP_1) | instskip(SKIP_1) | instid1(VALU_DEP_2)
	v_div_scale_f32 v6, null, s46, s46, v1
	v_div_scale_f32 v9, vcc_lo, v1, s46, v1
	v_rcp_f32_e32 v7, v6
	s_delay_alu instid0(TRANS32_DEP_1) | instskip(NEXT) | instid1(VALU_DEP_1)
	v_fma_f32 v8, -v6, v7, 1.0
	v_fmac_f32_e32 v7, v8, v7
	s_delay_alu instid0(VALU_DEP_1) | instskip(NEXT) | instid1(VALU_DEP_1)
	v_mul_f32_e32 v8, v9, v7
	v_fma_f32 v10, -v6, v8, v9
	s_delay_alu instid0(VALU_DEP_1) | instskip(NEXT) | instid1(VALU_DEP_1)
	v_fmac_f32_e32 v8, v10, v7
	v_fma_f32 v6, -v6, v8, v9
	s_wait_alu 0xfffd
	s_delay_alu instid0(VALU_DEP_1) | instskip(SKIP_1) | instid1(VALU_DEP_2)
	v_div_fmas_f32 v6, v6, v7, v8
	v_mov_b32_e32 v8, 0
	v_div_fixup_f32 v1, v6, s46, v1
	v_add_co_u32 v6, vcc_lo, s40, v4
	s_wait_alu 0xfffd
	v_add_co_ci_u32_e64 v7, null, s41, v5, vcc_lo
	s_delay_alu instid0(VALU_DEP_3) | instskip(SKIP_3) | instid1(VALU_DEP_3)
	v_cvt_f16_f32_e32 v1, v1
	v_add_co_u32 v4, vcc_lo, v4, s10
	s_wait_alu 0xfffd
	v_add_co_ci_u32_e64 v5, null, 0, v5, vcc_lo
	v_cvt_f32_f16_e32 v1, v1
	s_delay_alu instid0(VALU_DEP_3) | instskip(SKIP_1) | instid1(VALU_DEP_2)
	v_cmp_le_i32_e64 s0, s8, v4
	s_wait_alu 0xfffe
	v_med3_num_f32 v9, v1, s4, 0xc3e00000
	v_cmp_nlg_f32_e64 vcc_lo, 0x7f800000, |v1|
	s_or_b32 s2, s0, s2
	s_wait_alu 0xfffd
	v_cndmask_b32_e32 v1, v9, v1, vcc_lo
	v_add_co_u32 v2, vcc_lo, v2, s3
	s_wait_alu 0xfffd
	v_add_co_ci_u32_e64 v3, null, 0, v3, vcc_lo
	s_delay_alu instid0(VALU_DEP_3)
	v_cvt_pk_fp8_f32 v8, v1, v1
	global_store_b8 v[6:7], v8, off
	s_wait_alu 0xfffe
	s_and_not1_b32 exec_lo, exec_lo, s2
	s_cbranch_execnz .LBB18_43
.LBB18_44:
	s_or_b32 exec_lo, exec_lo, s1
	s_sub_co_i32 s40, s28, s8
	s_ashr_i32 s9, s8, 31
	s_wait_alu 0xfffe
	s_ashr_i32 s0, s40, 31
	s_mov_b32 s41, exec_lo
	s_wait_alu 0xfffe
	s_lshr_b32 s0, s0, 29
	s_wait_alu 0xfffe
	s_add_co_i32 s0, s40, s0
	s_wait_alu 0xfffe
	s_ashr_i32 s11, s0, 3
	s_add_nc_u64 s[0:1], s[8:9], s[26:27]
	s_wait_alu 0xfffe
	s_add_nc_u64 s[24:25], s[0:1], s[22:23]
	v_cmpx_gt_i32_e64 s11, v0
	s_cbranch_execz .LBB18_47
; %bb.45:
	v_lshlrev_b32_e32 v1, 3, v0
	s_wait_alu 0xfffe
	s_add_nc_u64 s[0:1], s[16:17], s[24:25]
	s_lshl_b64 s[2:3], s[8:9], 1
	v_lshlrev_b32_e32 v3, 4, v0
	s_wait_alu 0xfffe
	s_add_nc_u64 s[2:3], s[12:13], s[2:3]
	v_add_co_u32 v1, s0, s0, v1
	s_wait_alu 0xf1ff
	v_add_co_ci_u32_e64 v2, null, s1, 0, s0
	s_wait_alu 0xfffe
	s_add_nc_u64 s[0:1], s[2:3], s[38:39]
	v_mov_b32_e32 v5, v0
	s_wait_alu 0xfffe
	v_add_co_u32 v3, s0, s0, v3
	s_wait_alu 0xf1ff
	v_add_co_ci_u32_e64 v4, null, s1, 0, s0
	s_mov_b32 s42, 0
	s_lshl_b32 s43, s10, 3
	s_lshl_b32 s44, s10, 4
	s_mov_b32 s45, 0x43e00000
.LBB18_46:                              ; =>This Inner Loop Header: Depth=1
	global_load_b128 v[6:9], v[3:4], off
	s_wait_alu 0xfffe
	v_add_co_u32 v3, vcc_lo, v3, s44
	s_wait_alu 0xfffd
	v_add_co_ci_u32_e64 v4, null, 0, v4, vcc_lo
	v_dual_mov_b32 v10, 0 :: v_dual_mov_b32 v11, 0
	v_dual_mov_b32 v12, 0 :: v_dual_mov_b32 v13, 0
	;; [unrolled: 1-line block ×4, first 2 shown]
	s_wait_loadcnt 0x0
	v_lshrrev_b32_e32 v18, 16, v6
	v_cvt_f32_f16_e32 v6, v6
	v_lshrrev_b32_e32 v19, 16, v7
	v_lshrrev_b32_e32 v20, 16, v8
	;; [unrolled: 1-line block ×3, first 2 shown]
	v_cvt_f32_f16_e32 v7, v7
	v_cvt_f32_f16_e32 v8, v8
	;; [unrolled: 1-line block ×3, first 2 shown]
	s_wait_kmcnt 0x0
	v_div_scale_f32 v22, null, s46, s46, v6
	v_cvt_f32_f16_e32 v18, v18
	v_div_scale_f32 v24, null, s46, s46, v7
	v_cvt_f32_f16_e32 v19, v19
	;; [unrolled: 2-line block ×4, first 2 shown]
	v_rcp_f32_e32 v30, v22
	v_div_scale_f32 v31, null, s46, s46, v18
	v_rcp_f32_e32 v33, v24
	v_div_scale_f32 v34, null, s46, s46, v19
	;; [unrolled: 2-line block ×4, first 2 shown]
	v_rcp_f32_e32 v42, v31
	v_rcp_f32_e32 v43, v34
	;; [unrolled: 1-line block ×3, first 2 shown]
	s_delay_alu instid0(VALU_DEP_1)
	v_rcp_f32_e32 v45, v40
	v_fma_f32 v46, -v22, v30, 1.0
	v_add_nc_u32_e32 v5, s10, v5
	v_div_scale_f32 v23, vcc_lo, v6, s46, v6
	v_fma_f32 v47, -v24, v33, 1.0
	v_fma_f32 v48, -v26, v36, 1.0
	;; [unrolled: 1-line block ×3, first 2 shown]
	v_fmac_f32_e32 v30, v46, v30
	v_fma_f32 v46, -v31, v42, 1.0
	s_delay_alu instid0(VALU_DEP_4)
	v_dual_fmac_f32 v33, v47, v33 :: v_dual_fmac_f32 v36, v48, v36
	v_fma_f32 v47, -v34, v43, 1.0
	v_fma_f32 v48, -v37, v44, 1.0
	v_dual_fmac_f32 v39, v49, v39 :: v_dual_mul_f32 v50, v23, v30
	v_fma_f32 v49, -v40, v45, 1.0
	v_div_scale_f32 v35, s5, v19, s46, v19
	v_dual_fmac_f32 v42, v46, v42 :: v_dual_fmac_f32 v43, v47, v43
	s_delay_alu instid0(VALU_DEP_3) | instskip(SKIP_2) | instid1(VALU_DEP_4)
	v_dual_fmac_f32 v44, v48, v44 :: v_dual_fmac_f32 v45, v49, v45
	v_fma_f32 v49, -v22, v50, v23
	v_div_scale_f32 v25, s1, v7, s46, v7
	v_mul_f32_e32 v53, v35, v43
	v_div_scale_f32 v27, s2, v8, s46, v8
	s_delay_alu instid0(VALU_DEP_4) | instskip(SKIP_2) | instid1(VALU_DEP_3)
	v_fmac_f32_e32 v50, v49, v30
	v_div_scale_f32 v29, s3, v9, s46, v9
	v_div_scale_f32 v32, s4, v18, s46, v18
	v_fma_f32 v22, -v22, v50, v23
	v_dual_mul_f32 v46, v25, v33 :: v_dual_mul_f32 v47, v27, v36
	s_delay_alu instid0(VALU_DEP_3) | instskip(SKIP_1) | instid1(VALU_DEP_3)
	v_dual_mul_f32 v48, v29, v39 :: v_dual_mul_f32 v51, v32, v42
	s_wait_alu 0xfffd
	v_div_fmas_f32 v22, v22, v30, v50
	v_div_scale_f32 v38, s6, v20, s46, v20
	v_fma_f32 v52, -v24, v46, v25
	v_fma_f32 v54, -v26, v47, v27
	s_delay_alu instid0(VALU_DEP_4) | instskip(SKIP_1) | instid1(VALU_DEP_4)
	v_div_fixup_f32 v6, v22, s46, v6
	v_fma_f32 v49, -v31, v51, v32
	v_dual_mul_f32 v55, v38, v44 :: v_dual_fmac_f32 v46, v52, v33
	s_mov_b32 vcc_lo, s4
	s_delay_alu instid0(VALU_DEP_3) | instskip(NEXT) | instid1(VALU_DEP_3)
	v_cvt_f16_f32_e32 v6, v6
	v_fmac_f32_e32 v51, v49, v42
	v_fma_f32 v52, -v34, v53, v35
	v_fma_f32 v23, -v24, v46, v25
	v_div_scale_f32 v41, s7, v21, s46, v21
	v_cvt_f32_f16_e32 v6, v6
	v_fmac_f32_e32 v47, v54, v36
	v_fma_f32 v56, -v28, v48, v29
	v_fma_f32 v54, -v37, v55, v38
	v_mul_f32_e32 v57, v41, v45
	v_cmp_le_i32_e64 s0, s11, v5
	v_fma_f32 v24, -v26, v47, v27
	v_fma_f32 v26, -v31, v51, v32
	v_dual_fmac_f32 v48, v56, v39 :: v_dual_fmac_f32 v55, v54, v44
	v_fma_f32 v56, -v40, v57, v41
	s_or_b32 s42, s0, s42
	s_wait_alu 0xfffe
	v_div_fmas_f32 v22, v26, v42, v51
	s_mov_b32 vcc_lo, s1
	v_fma_f32 v25, -v28, v48, v29
	s_wait_alu 0xfffe
	v_div_fmas_f32 v23, v23, v33, v46
	s_mov_b32 vcc_lo, s5
	v_div_fixup_f32 v18, v22, s46, v18
	v_fma_f32 v28, -v37, v55, v38
	v_fmac_f32_e32 v57, v56, v45
	v_div_fixup_f32 v7, v23, s46, v7
	s_delay_alu instid0(VALU_DEP_4) | instskip(NEXT) | instid1(VALU_DEP_3)
	v_cvt_f16_f32_e32 v18, v18
	v_fma_f32 v29, -v40, v57, v41
	s_delay_alu instid0(VALU_DEP_3) | instskip(NEXT) | instid1(VALU_DEP_3)
	v_cvt_f16_f32_e32 v7, v7
	v_cvt_f32_f16_e32 v18, v18
	v_fmac_f32_e32 v53, v52, v43
	s_delay_alu instid0(VALU_DEP_3) | instskip(NEXT) | instid1(VALU_DEP_2)
	v_cvt_f32_f16_e32 v7, v7
	v_fma_f32 v27, -v34, v53, v35
	s_delay_alu instid0(VALU_DEP_2) | instskip(SKIP_1) | instid1(VALU_DEP_2)
	v_cmp_nlg_f32_e64 s1, 0x7f800000, |v7|
	s_wait_alu 0xfffe
	v_div_fmas_f32 v26, v27, v43, v53
	s_mov_b32 vcc_lo, s2
	s_wait_alu 0xfffe
	v_div_fmas_f32 v22, v24, v36, v47
	s_mov_b32 vcc_lo, s6
	v_div_fixup_f32 v19, v26, s46, v19
	s_wait_alu 0xfffe
	v_div_fmas_f32 v23, v28, v44, v55
	s_mov_b32 vcc_lo, s3
	v_div_fixup_f32 v8, v22, s46, v8
	;; [unrolled: 4-line block ×3, first 2 shown]
	s_wait_alu 0xfffe
	v_div_fmas_f32 v22, v29, v45, v57
	v_cvt_f16_f32_e32 v19, v19
	v_med3_num_f32 v23, v6, s45, 0xc3e00000
	v_cmp_nlg_f32_e64 vcc_lo, 0x7f800000, |v6|
	v_div_fixup_f32 v9, v24, s46, v9
	v_cvt_f16_f32_e32 v8, v8
	v_div_fixup_f32 v21, v22, s46, v21
	v_cvt_f16_f32_e32 v20, v20
	v_cvt_f32_f16_e32 v19, v19
	s_wait_alu 0xfffd
	v_cndmask_b32_e32 v6, v23, v6, vcc_lo
	v_med3_num_f32 v22, v18, s45, 0xc3e00000
	v_cmp_nlg_f32_e64 vcc_lo, 0x7f800000, |v18|
	v_cvt_f16_f32_e32 v9, v9
	v_cvt_f32_f16_e32 v8, v8
	v_med3_num_f32 v23, v7, s45, 0xc3e00000
	v_cvt_f16_f32_e32 v21, v21
	v_cvt_f32_f16_e32 v20, v20
	v_med3_num_f32 v24, v19, s45, 0xc3e00000
	v_cmp_nlg_f32_e64 s2, 0x7f800000, |v19|
	v_cvt_pk_fp8_f32 v10, v6, v6
	s_wait_alu 0xfffd
	v_cndmask_b32_e32 v6, v22, v18, vcc_lo
	v_cvt_f32_f16_e32 v9, v9
	v_med3_num_f32 v18, v8, s45, 0xc3e00000
	v_cmp_nlg_f32_e64 vcc_lo, 0x7f800000, |v8|
	v_cndmask_b32_e64 v7, v23, v7, s1
	v_cvt_f32_f16_e32 v21, v21
	v_med3_num_f32 v22, v20, s45, 0xc3e00000
	v_cmp_nlg_f32_e64 s1, 0x7f800000, |v20|
	s_wait_alu 0xf1ff
	v_cndmask_b32_e64 v19, v24, v19, s2
	v_cvt_pk_fp8_f32 v11, v6, v6
	v_med3_num_f32 v6, v9, s45, 0xc3e00000
	v_cmp_nlg_f32_e64 s2, 0x7f800000, |v9|
	s_wait_alu 0xfffd
	v_cndmask_b32_e32 v8, v18, v8, vcc_lo
	v_cvt_pk_fp8_f32 v12, v7, v7
	v_med3_num_f32 v7, v21, s45, 0xc3e00000
	v_cmp_nlg_f32_e64 vcc_lo, 0x7f800000, |v21|
	v_cndmask_b32_e64 v18, v22, v20, s1
	s_wait_alu 0xf1ff
	v_cndmask_b32_e64 v6, v6, v9, s2
	v_cvt_pk_fp8_f32 v13, v19, v19
	v_lshlrev_b32_e32 v9, 8, v11
	v_cvt_pk_fp8_f32 v14, v8, v8
	v_lshlrev_b32_e32 v8, 16, v12
	v_cvt_pk_fp8_f32 v15, v18, v18
	s_wait_alu 0xfffd
	v_cndmask_b32_e32 v7, v7, v21, vcc_lo
	v_cvt_pk_fp8_f32 v16, v6, v6
	v_and_b32_e32 v10, 0xff, v10
	v_and_b32_e32 v6, 0xff00, v9
	;; [unrolled: 1-line block ×3, first 2 shown]
	v_cvt_pk_fp8_f32 v17, v7, v7
	v_perm_b32 v7, v13, v8, 0x4020c0c
	v_and_b32_e32 v8, 0xff, v15
	v_and_b32_e32 v11, 0xff, v16
	s_delay_alu instid0(VALU_DEP_4) | instskip(NEXT) | instid1(VALU_DEP_4)
	v_lshlrev_b32_e32 v12, 24, v17
	v_or3_b32 v6, v7, v6, v10
	s_delay_alu instid0(VALU_DEP_4) | instskip(NEXT) | instid1(VALU_DEP_4)
	v_lshlrev_b32_e32 v7, 8, v8
	v_lshlrev_b32_e32 v8, 16, v11
	s_delay_alu instid0(VALU_DEP_1) | instskip(NEXT) | instid1(VALU_DEP_1)
	v_or_b32_e32 v8, v12, v8
	v_or3_b32 v7, v8, v7, v9
	global_store_b64 v[1:2], v[6:7], off
	v_add_co_u32 v1, vcc_lo, v1, s43
	s_wait_alu 0xfffd
	v_add_co_ci_u32_e64 v2, null, 0, v2, vcc_lo
	s_and_not1_b32 exec_lo, exec_lo, s42
	s_cbranch_execnz .LBB18_46
.LBB18_47:
	s_or_b32 exec_lo, exec_lo, s41
	v_lshl_add_u32 v1, s11, 3, v0
	s_mov_b32 s1, exec_lo
	s_delay_alu instid0(VALU_DEP_1)
	v_cmpx_gt_i32_e64 s40, v1
	s_cbranch_execz .LBB18_50
; %bb.48:
	v_ashrrev_i32_e32 v2, 31, v1
	s_lshl_b64 s[2:3], s[8:9], 1
	s_wait_alu 0xfffe
	s_add_nc_u64 s[6:7], s[16:17], s[24:25]
	s_add_nc_u64 s[2:3], s[38:39], s[2:3]
	s_mov_b32 s11, 0
	v_lshlrev_b64_e32 v[3:4], 1, v[1:2]
	s_wait_alu 0xfffe
	s_add_nc_u64 s[2:3], s[12:13], s[2:3]
	s_lshl_b32 s4, s10, 1
	s_mov_b32 s5, 0x43e00000
	s_wait_alu 0xfffe
	v_add_co_u32 v3, vcc_lo, s2, v3
	s_wait_alu 0xfffd
	v_add_co_ci_u32_e64 v4, null, s3, v4, vcc_lo
	v_add_co_u32 v5, vcc_lo, s6, v1
	s_wait_alu 0xfffd
	v_add_co_ci_u32_e64 v2, null, s7, v2, vcc_lo
	s_mov_b64 s[2:3], 0
	s_mov_b32 s6, s11
.LBB18_49:                              ; =>This Inner Loop Header: Depth=1
	global_load_u16 v6, v[3:4], off
	s_wait_loadcnt 0x0
	v_cvt_f32_f16_e32 v6, v6
	s_wait_kmcnt 0x0
	s_delay_alu instid0(VALU_DEP_1) | instskip(SKIP_1) | instid1(VALU_DEP_2)
	v_div_scale_f32 v7, null, s46, s46, v6
	v_div_scale_f32 v10, vcc_lo, v6, s46, v6
	v_rcp_f32_e32 v8, v7
	s_delay_alu instid0(TRANS32_DEP_1) | instskip(NEXT) | instid1(VALU_DEP_1)
	v_fma_f32 v9, -v7, v8, 1.0
	v_fmac_f32_e32 v8, v9, v8
	s_delay_alu instid0(VALU_DEP_1) | instskip(NEXT) | instid1(VALU_DEP_1)
	v_mul_f32_e32 v9, v10, v8
	v_fma_f32 v11, -v7, v9, v10
	s_delay_alu instid0(VALU_DEP_1) | instskip(NEXT) | instid1(VALU_DEP_1)
	v_fmac_f32_e32 v9, v11, v8
	v_fma_f32 v7, -v7, v9, v10
	v_mov_b32_e32 v10, 0
	s_wait_alu 0xfffd
	s_delay_alu instid0(VALU_DEP_2) | instskip(NEXT) | instid1(VALU_DEP_1)
	v_div_fmas_f32 v7, v7, v8, v9
	v_div_fixup_f32 v6, v7, s46, v6
	s_delay_alu instid0(VALU_DEP_1) | instskip(SKIP_2) | instid1(VALU_DEP_2)
	v_cvt_f16_f32_e32 v7, v6
	s_wait_alu 0xfffe
	v_add_co_u32 v6, vcc_lo, v5, s2
	v_cvt_f32_f16_e32 v8, v7
	s_wait_alu 0xfffd
	v_add_co_ci_u32_e64 v7, null, s3, v2, vcc_lo
	s_add_nc_u64 s[2:3], s[2:3], s[10:11]
	s_wait_alu 0xfffe
	v_add_nc_u32_e32 v11, s2, v1
	v_med3_num_f32 v9, v8, s5, 0xc3e00000
	v_cmp_nlg_f32_e64 vcc_lo, 0x7f800000, |v8|
	s_delay_alu instid0(VALU_DEP_3) | instskip(SKIP_1) | instid1(VALU_DEP_3)
	v_cmp_le_i32_e64 s0, s40, v11
	s_wait_alu 0xfffd
	v_cndmask_b32_e32 v8, v9, v8, vcc_lo
	v_add_co_u32 v3, vcc_lo, v3, s4
	s_wait_alu 0xfffd
	v_add_co_ci_u32_e64 v4, null, 0, v4, vcc_lo
	s_delay_alu instid0(VALU_DEP_3)
	v_cvt_pk_fp8_f32 v10, v8, v8
	s_or_b32 s6, s0, s6
	global_store_b8 v[6:7], v10, off
	s_wait_alu 0xfffe
	s_and_not1_b32 exec_lo, exec_lo, s6
	s_cbranch_execnz .LBB18_49
.LBB18_50:
	s_wait_alu 0xfffe
	s_or_b32 exec_lo, exec_lo, s1
	s_mov_b32 s0, 0
.LBB18_51:
	s_wait_alu 0xfffe
	s_and_b32 vcc_lo, exec_lo, s0
	s_wait_alu 0xfffe
	s_cbranch_vccz .LBB18_56
; %bb.52:
	s_ashr_i32 s8, s28, 3
	s_mov_b32 s9, exec_lo
	s_wait_alu 0xfffe
	v_cmpx_gt_i32_e64 s8, v0
	s_cbranch_execz .LBB18_55
; %bb.53:
	v_lshlrev_b32_e32 v1, 3, v0
	s_add_nc_u64 s[0:1], s[26:27], s[22:23]
	v_lshlrev_b32_e32 v3, 4, v0
	s_wait_alu 0xfffe
	s_add_nc_u64 s[0:1], s[16:17], s[0:1]
	v_mov_b32_e32 v5, v0
	s_wait_alu 0xfffe
	v_add_co_u32 v1, s0, s0, v1
	s_wait_alu 0xf1ff
	v_add_co_ci_u32_e64 v2, null, s1, 0, s0
	v_add_co_u32 v3, s0, s36, v3
	s_wait_alu 0xf1ff
	v_add_co_ci_u32_e64 v4, null, s37, 0, s0
	s_mov_b32 s11, 0
	s_lshl_b32 s12, s10, 3
	s_lshl_b32 s13, s10, 4
	s_mov_b32 s16, 0x43e00000
.LBB18_54:                              ; =>This Inner Loop Header: Depth=1
	global_load_b128 v[6:9], v[3:4], off
	v_add_co_u32 v3, vcc_lo, v3, s13
	s_wait_alu 0xfffd
	v_add_co_ci_u32_e64 v4, null, 0, v4, vcc_lo
	v_dual_mov_b32 v10, 0 :: v_dual_mov_b32 v11, 0
	v_dual_mov_b32 v12, 0 :: v_dual_mov_b32 v13, 0
	;; [unrolled: 1-line block ×4, first 2 shown]
	s_wait_loadcnt 0x0
	v_lshrrev_b32_e32 v18, 16, v6
	v_cvt_f32_f16_e32 v6, v6
	v_lshrrev_b32_e32 v19, 16, v7
	v_lshrrev_b32_e32 v20, 16, v8
	;; [unrolled: 1-line block ×3, first 2 shown]
	v_cvt_f32_f16_e32 v7, v7
	v_cvt_f32_f16_e32 v8, v8
	v_cvt_f32_f16_e32 v9, v9
	s_wait_kmcnt 0x0
	v_div_scale_f32 v22, null, s46, s46, v6
	v_cvt_f32_f16_e32 v18, v18
	v_div_scale_f32 v24, null, s46, s46, v7
	v_cvt_f32_f16_e32 v19, v19
	;; [unrolled: 2-line block ×4, first 2 shown]
	v_rcp_f32_e32 v30, v22
	v_div_scale_f32 v31, null, s46, s46, v18
	v_rcp_f32_e32 v33, v24
	v_div_scale_f32 v34, null, s46, s46, v19
	;; [unrolled: 2-line block ×4, first 2 shown]
	v_rcp_f32_e32 v42, v31
	v_rcp_f32_e32 v43, v34
	;; [unrolled: 1-line block ×3, first 2 shown]
	s_delay_alu instid0(VALU_DEP_1)
	v_rcp_f32_e32 v45, v40
	v_fma_f32 v46, -v22, v30, 1.0
	v_add_nc_u32_e32 v5, s10, v5
	v_div_scale_f32 v23, vcc_lo, v6, s46, v6
	v_fma_f32 v47, -v24, v33, 1.0
	v_fma_f32 v48, -v26, v36, 1.0
	;; [unrolled: 1-line block ×3, first 2 shown]
	v_fmac_f32_e32 v30, v46, v30
	v_fma_f32 v46, -v31, v42, 1.0
	s_delay_alu instid0(VALU_DEP_4)
	v_dual_fmac_f32 v33, v47, v33 :: v_dual_fmac_f32 v36, v48, v36
	v_fma_f32 v47, -v34, v43, 1.0
	v_fma_f32 v48, -v37, v44, 1.0
	v_dual_fmac_f32 v39, v49, v39 :: v_dual_mul_f32 v50, v23, v30
	v_fma_f32 v49, -v40, v45, 1.0
	v_div_scale_f32 v35, s5, v19, s46, v19
	v_dual_fmac_f32 v42, v46, v42 :: v_dual_fmac_f32 v43, v47, v43
	s_delay_alu instid0(VALU_DEP_3) | instskip(SKIP_2) | instid1(VALU_DEP_4)
	v_dual_fmac_f32 v44, v48, v44 :: v_dual_fmac_f32 v45, v49, v45
	v_fma_f32 v49, -v22, v50, v23
	v_div_scale_f32 v25, s1, v7, s46, v7
	v_mul_f32_e32 v53, v35, v43
	v_div_scale_f32 v27, s2, v8, s46, v8
	s_delay_alu instid0(VALU_DEP_4) | instskip(SKIP_2) | instid1(VALU_DEP_3)
	v_fmac_f32_e32 v50, v49, v30
	v_div_scale_f32 v29, s3, v9, s46, v9
	v_div_scale_f32 v32, s4, v18, s46, v18
	v_fma_f32 v22, -v22, v50, v23
	v_dual_mul_f32 v46, v25, v33 :: v_dual_mul_f32 v47, v27, v36
	s_delay_alu instid0(VALU_DEP_3) | instskip(SKIP_1) | instid1(VALU_DEP_3)
	v_dual_mul_f32 v48, v29, v39 :: v_dual_mul_f32 v51, v32, v42
	s_wait_alu 0xfffd
	v_div_fmas_f32 v22, v22, v30, v50
	v_div_scale_f32 v38, s6, v20, s46, v20
	v_fma_f32 v52, -v24, v46, v25
	v_fma_f32 v54, -v26, v47, v27
	s_delay_alu instid0(VALU_DEP_4) | instskip(SKIP_1) | instid1(VALU_DEP_4)
	v_div_fixup_f32 v6, v22, s46, v6
	v_fma_f32 v49, -v31, v51, v32
	v_dual_mul_f32 v55, v38, v44 :: v_dual_fmac_f32 v46, v52, v33
	s_mov_b32 vcc_lo, s4
	s_delay_alu instid0(VALU_DEP_3) | instskip(NEXT) | instid1(VALU_DEP_3)
	v_cvt_f16_f32_e32 v6, v6
	v_fmac_f32_e32 v51, v49, v42
	v_fma_f32 v52, -v34, v53, v35
	v_fma_f32 v23, -v24, v46, v25
	v_div_scale_f32 v41, s7, v21, s46, v21
	v_cvt_f32_f16_e32 v6, v6
	v_fmac_f32_e32 v47, v54, v36
	v_fma_f32 v56, -v28, v48, v29
	v_fma_f32 v54, -v37, v55, v38
	v_mul_f32_e32 v57, v41, v45
	v_cmp_le_i32_e64 s0, s8, v5
	v_fma_f32 v24, -v26, v47, v27
	v_fma_f32 v26, -v31, v51, v32
	v_dual_fmac_f32 v48, v56, v39 :: v_dual_fmac_f32 v55, v54, v44
	v_fma_f32 v56, -v40, v57, v41
	s_wait_alu 0xfffe
	s_or_b32 s11, s0, s11
	v_div_fmas_f32 v22, v26, v42, v51
	s_mov_b32 vcc_lo, s1
	v_fma_f32 v25, -v28, v48, v29
	s_wait_alu 0xfffe
	v_div_fmas_f32 v23, v23, v33, v46
	s_mov_b32 vcc_lo, s5
	v_div_fixup_f32 v18, v22, s46, v18
	v_fma_f32 v28, -v37, v55, v38
	v_fmac_f32_e32 v57, v56, v45
	v_div_fixup_f32 v7, v23, s46, v7
	s_delay_alu instid0(VALU_DEP_4) | instskip(NEXT) | instid1(VALU_DEP_3)
	v_cvt_f16_f32_e32 v18, v18
	v_fma_f32 v29, -v40, v57, v41
	s_delay_alu instid0(VALU_DEP_3) | instskip(NEXT) | instid1(VALU_DEP_3)
	v_cvt_f16_f32_e32 v7, v7
	v_cvt_f32_f16_e32 v18, v18
	v_fmac_f32_e32 v53, v52, v43
	s_delay_alu instid0(VALU_DEP_3) | instskip(NEXT) | instid1(VALU_DEP_2)
	v_cvt_f32_f16_e32 v7, v7
	v_fma_f32 v27, -v34, v53, v35
	s_delay_alu instid0(VALU_DEP_2) | instskip(SKIP_1) | instid1(VALU_DEP_2)
	v_cmp_nlg_f32_e64 s1, 0x7f800000, |v7|
	s_wait_alu 0xfffe
	v_div_fmas_f32 v26, v27, v43, v53
	s_mov_b32 vcc_lo, s2
	s_wait_alu 0xfffe
	v_div_fmas_f32 v22, v24, v36, v47
	s_mov_b32 vcc_lo, s6
	v_div_fixup_f32 v19, v26, s46, v19
	s_wait_alu 0xfffe
	v_div_fmas_f32 v23, v28, v44, v55
	s_mov_b32 vcc_lo, s3
	v_div_fixup_f32 v8, v22, s46, v8
	;; [unrolled: 4-line block ×3, first 2 shown]
	s_wait_alu 0xfffe
	v_div_fmas_f32 v22, v29, v45, v57
	v_cvt_f16_f32_e32 v19, v19
	v_med3_num_f32 v23, v6, s16, 0xc3e00000
	v_cmp_nlg_f32_e64 vcc_lo, 0x7f800000, |v6|
	v_div_fixup_f32 v9, v24, s46, v9
	v_cvt_f16_f32_e32 v8, v8
	v_div_fixup_f32 v21, v22, s46, v21
	v_cvt_f16_f32_e32 v20, v20
	v_cvt_f32_f16_e32 v19, v19
	s_wait_alu 0xfffd
	v_cndmask_b32_e32 v6, v23, v6, vcc_lo
	v_med3_num_f32 v22, v18, s16, 0xc3e00000
	v_cmp_nlg_f32_e64 vcc_lo, 0x7f800000, |v18|
	v_cvt_f16_f32_e32 v9, v9
	v_cvt_f32_f16_e32 v8, v8
	v_med3_num_f32 v23, v7, s16, 0xc3e00000
	v_cvt_f16_f32_e32 v21, v21
	v_cvt_f32_f16_e32 v20, v20
	v_med3_num_f32 v24, v19, s16, 0xc3e00000
	v_cmp_nlg_f32_e64 s2, 0x7f800000, |v19|
	v_cvt_pk_fp8_f32 v10, v6, v6
	s_wait_alu 0xfffd
	v_cndmask_b32_e32 v6, v22, v18, vcc_lo
	v_cvt_f32_f16_e32 v9, v9
	v_med3_num_f32 v18, v8, s16, 0xc3e00000
	v_cmp_nlg_f32_e64 vcc_lo, 0x7f800000, |v8|
	v_cndmask_b32_e64 v7, v23, v7, s1
	v_cvt_f32_f16_e32 v21, v21
	v_med3_num_f32 v22, v20, s16, 0xc3e00000
	v_cmp_nlg_f32_e64 s1, 0x7f800000, |v20|
	s_wait_alu 0xf1ff
	v_cndmask_b32_e64 v19, v24, v19, s2
	v_cvt_pk_fp8_f32 v11, v6, v6
	v_med3_num_f32 v6, v9, s16, 0xc3e00000
	v_cmp_nlg_f32_e64 s2, 0x7f800000, |v9|
	s_wait_alu 0xfffd
	v_cndmask_b32_e32 v8, v18, v8, vcc_lo
	v_cvt_pk_fp8_f32 v12, v7, v7
	v_med3_num_f32 v7, v21, s16, 0xc3e00000
	v_cmp_nlg_f32_e64 vcc_lo, 0x7f800000, |v21|
	v_cndmask_b32_e64 v18, v22, v20, s1
	s_wait_alu 0xf1ff
	v_cndmask_b32_e64 v6, v6, v9, s2
	v_cvt_pk_fp8_f32 v13, v19, v19
	v_lshlrev_b32_e32 v9, 8, v11
	v_cvt_pk_fp8_f32 v14, v8, v8
	v_lshlrev_b32_e32 v8, 16, v12
	v_cvt_pk_fp8_f32 v15, v18, v18
	s_wait_alu 0xfffd
	v_cndmask_b32_e32 v7, v7, v21, vcc_lo
	v_cvt_pk_fp8_f32 v16, v6, v6
	v_and_b32_e32 v10, 0xff, v10
	v_and_b32_e32 v6, 0xff00, v9
	;; [unrolled: 1-line block ×3, first 2 shown]
	v_cvt_pk_fp8_f32 v17, v7, v7
	v_perm_b32 v7, v13, v8, 0x4020c0c
	v_and_b32_e32 v8, 0xff, v15
	v_and_b32_e32 v11, 0xff, v16
	s_delay_alu instid0(VALU_DEP_4) | instskip(NEXT) | instid1(VALU_DEP_4)
	v_lshlrev_b32_e32 v12, 24, v17
	v_or3_b32 v6, v7, v6, v10
	s_delay_alu instid0(VALU_DEP_4) | instskip(NEXT) | instid1(VALU_DEP_4)
	v_lshlrev_b32_e32 v7, 8, v8
	v_lshlrev_b32_e32 v8, 16, v11
	s_delay_alu instid0(VALU_DEP_1) | instskip(NEXT) | instid1(VALU_DEP_1)
	v_or_b32_e32 v8, v12, v8
	v_or3_b32 v7, v8, v7, v9
	global_store_b64 v[1:2], v[6:7], off
	v_add_co_u32 v1, vcc_lo, v1, s12
	s_wait_alu 0xfffd
	v_add_co_ci_u32_e64 v2, null, 0, v2, vcc_lo
	s_and_not1_b32 exec_lo, exec_lo, s11
	s_cbranch_execnz .LBB18_54
.LBB18_55:
	s_or_b32 exec_lo, exec_lo, s9
.LBB18_56:
	s_and_b32 s0, s20, 15
	s_mov_b32 s1, 0
	s_wait_alu 0xfffe
	s_cmp_lg_u64 s[0:1], 0
	s_cselect_b32 s0, -1, 0
	s_xor_b32 s1, s29, -1
	s_wait_alu 0xfffe
	s_or_b32 s0, s1, s0
	s_wait_alu 0xfffe
	s_and_b32 vcc_lo, exec_lo, s0
	s_mov_b32 s0, -1
	s_wait_alu 0xfffe
	s_cbranch_vccz .LBB18_67
; %bb.57:
	s_sub_co_i32 s0, 0, s20
	s_mov_b32 s1, exec_lo
	s_wait_alu 0xfffe
	s_bfe_u32 s0, s0, 0x30001
	s_wait_alu 0xfffe
	s_min_i32 s8, s0, s28
	s_wait_alu 0xfffe
	v_cmpx_gt_i32_e64 s8, v0
	s_cbranch_execz .LBB18_60
; %bb.58:
	v_dual_mov_b32 v1, 0 :: v_dual_lshlrev_b32 v2, 1, v0
	s_mov_b32 s2, 0
	s_lshl_b32 s3, s10, 1
	s_mov_b32 s4, 0x43e00000
	s_delay_alu instid0(VALU_DEP_1)
	v_add_co_u32 v2, s0, s20, v2
	s_wait_alu 0xf1ff
	v_add_co_ci_u32_e64 v3, null, s21, 0, s0
	v_dual_mov_b32 v5, v1 :: v_dual_mov_b32 v4, v0
.LBB18_59:                              ; =>This Inner Loop Header: Depth=1
	global_load_u16 v1, v[2:3], off
	s_wait_loadcnt 0x0
	v_cvt_f32_f16_e32 v1, v1
	s_wait_kmcnt 0x0
	s_delay_alu instid0(VALU_DEP_1) | instskip(SKIP_1) | instid1(VALU_DEP_2)
	v_div_scale_f32 v6, null, s33, s33, v1
	v_div_scale_f32 v9, vcc_lo, v1, s33, v1
	v_rcp_f32_e32 v7, v6
	s_delay_alu instid0(TRANS32_DEP_1) | instskip(NEXT) | instid1(VALU_DEP_1)
	v_fma_f32 v8, -v6, v7, 1.0
	v_fmac_f32_e32 v7, v8, v7
	s_delay_alu instid0(VALU_DEP_1) | instskip(NEXT) | instid1(VALU_DEP_1)
	v_mul_f32_e32 v8, v9, v7
	v_fma_f32 v10, -v6, v8, v9
	s_delay_alu instid0(VALU_DEP_1) | instskip(NEXT) | instid1(VALU_DEP_1)
	v_fmac_f32_e32 v8, v10, v7
	v_fma_f32 v6, -v6, v8, v9
	s_wait_alu 0xfffd
	s_delay_alu instid0(VALU_DEP_1) | instskip(SKIP_1) | instid1(VALU_DEP_2)
	v_div_fmas_f32 v6, v6, v7, v8
	v_mov_b32_e32 v8, 0
	v_div_fixup_f32 v1, v6, s33, v1
	v_add_co_u32 v6, vcc_lo, s34, v4
	s_wait_alu 0xfffd
	v_add_co_ci_u32_e64 v7, null, s35, v5, vcc_lo
	s_delay_alu instid0(VALU_DEP_3) | instskip(SKIP_3) | instid1(VALU_DEP_3)
	v_cvt_f16_f32_e32 v1, v1
	v_add_co_u32 v4, vcc_lo, v4, s10
	s_wait_alu 0xfffd
	v_add_co_ci_u32_e64 v5, null, 0, v5, vcc_lo
	v_cvt_f32_f16_e32 v1, v1
	s_delay_alu instid0(VALU_DEP_3) | instskip(SKIP_1) | instid1(VALU_DEP_2)
	v_cmp_le_i32_e64 s0, s8, v4
	s_wait_alu 0xfffe
	v_med3_num_f32 v9, v1, s4, 0xc3e00000
	v_cmp_nlg_f32_e64 vcc_lo, 0x7f800000, |v1|
	s_or_b32 s2, s0, s2
	s_wait_alu 0xfffd
	v_cndmask_b32_e32 v1, v9, v1, vcc_lo
	v_add_co_u32 v2, vcc_lo, v2, s3
	s_wait_alu 0xfffd
	v_add_co_ci_u32_e64 v3, null, 0, v3, vcc_lo
	s_delay_alu instid0(VALU_DEP_3)
	v_cvt_pk_fp8_f32 v8, v1, v1
	global_store_b8 v[6:7], v8, off
	s_wait_alu 0xfffe
	s_and_not1_b32 exec_lo, exec_lo, s2
	s_cbranch_execnz .LBB18_59
.LBB18_60:
	s_or_b32 exec_lo, exec_lo, s1
	s_sub_co_i32 s16, s28, s8
	s_ashr_i32 s9, s8, 31
	s_wait_alu 0xfffe
	s_ashr_i32 s0, s16, 31
	s_mov_b32 s17, exec_lo
	s_wait_alu 0xfffe
	s_lshr_b32 s0, s0, 29
	s_wait_alu 0xfffe
	s_add_co_i32 s0, s16, s0
	s_wait_alu 0xfffe
	s_ashr_i32 s11, s0, 3
	s_add_nc_u64 s[0:1], s[8:9], s[26:27]
	s_wait_alu 0xfffe
	s_add_nc_u64 s[12:13], s[0:1], s[22:23]
	v_cmpx_gt_i32_e64 s11, v0
	s_cbranch_execz .LBB18_63
; %bb.61:
	v_lshlrev_b32_e32 v1, 3, v0
	s_wait_alu 0xfffe
	s_add_nc_u64 s[0:1], s[18:19], s[12:13]
	s_lshl_b64 s[2:3], s[8:9], 1
	v_lshlrev_b32_e32 v3, 4, v0
	s_wait_alu 0xfffe
	s_add_nc_u64 s[2:3], s[14:15], s[2:3]
	v_add_co_u32 v1, s0, s0, v1
	s_wait_alu 0xf1ff
	v_add_co_ci_u32_e64 v2, null, s1, 0, s0
	s_wait_alu 0xfffe
	s_add_nc_u64 s[0:1], s[2:3], s[30:31]
	v_mov_b32_e32 v5, v0
	s_wait_alu 0xfffe
	v_add_co_u32 v3, s0, s0, v3
	s_wait_alu 0xf1ff
	v_add_co_ci_u32_e64 v4, null, s1, 0, s0
	s_mov_b32 s24, 0
	s_lshl_b32 s25, s10, 3
	s_lshl_b32 s29, s10, 4
	s_mov_b32 s34, 0x43e00000
.LBB18_62:                              ; =>This Inner Loop Header: Depth=1
	global_load_b128 v[6:9], v[3:4], off
	s_wait_alu 0xfffe
	v_add_co_u32 v3, vcc_lo, v3, s29
	s_wait_alu 0xfffd
	v_add_co_ci_u32_e64 v4, null, 0, v4, vcc_lo
	v_dual_mov_b32 v10, 0 :: v_dual_mov_b32 v11, 0
	v_dual_mov_b32 v12, 0 :: v_dual_mov_b32 v13, 0
	;; [unrolled: 1-line block ×4, first 2 shown]
	s_wait_loadcnt 0x0
	v_lshrrev_b32_e32 v18, 16, v6
	v_cvt_f32_f16_e32 v6, v6
	v_lshrrev_b32_e32 v19, 16, v7
	v_lshrrev_b32_e32 v20, 16, v8
	;; [unrolled: 1-line block ×3, first 2 shown]
	v_cvt_f32_f16_e32 v7, v7
	v_cvt_f32_f16_e32 v8, v8
	;; [unrolled: 1-line block ×3, first 2 shown]
	s_wait_kmcnt 0x0
	v_div_scale_f32 v22, null, s33, s33, v6
	v_cvt_f32_f16_e32 v18, v18
	v_div_scale_f32 v24, null, s33, s33, v7
	v_cvt_f32_f16_e32 v19, v19
	;; [unrolled: 2-line block ×4, first 2 shown]
	v_rcp_f32_e32 v30, v22
	v_div_scale_f32 v31, null, s33, s33, v18
	v_rcp_f32_e32 v33, v24
	v_div_scale_f32 v34, null, s33, s33, v19
	v_rcp_f32_e32 v36, v26
	v_div_scale_f32 v37, null, s33, s33, v20
	v_rcp_f32_e32 v39, v28
	v_div_scale_f32 v40, null, s33, s33, v21
	v_rcp_f32_e32 v42, v31
	v_rcp_f32_e32 v43, v34
	;; [unrolled: 1-line block ×3, first 2 shown]
	s_delay_alu instid0(VALU_DEP_1)
	v_rcp_f32_e32 v45, v40
	v_fma_f32 v46, -v22, v30, 1.0
	v_add_nc_u32_e32 v5, s10, v5
	v_div_scale_f32 v23, vcc_lo, v6, s33, v6
	v_fma_f32 v47, -v24, v33, 1.0
	v_fma_f32 v48, -v26, v36, 1.0
	;; [unrolled: 1-line block ×3, first 2 shown]
	v_fmac_f32_e32 v30, v46, v30
	v_fma_f32 v46, -v31, v42, 1.0
	s_delay_alu instid0(VALU_DEP_4)
	v_dual_fmac_f32 v33, v47, v33 :: v_dual_fmac_f32 v36, v48, v36
	v_fma_f32 v47, -v34, v43, 1.0
	v_fma_f32 v48, -v37, v44, 1.0
	v_dual_fmac_f32 v39, v49, v39 :: v_dual_mul_f32 v50, v23, v30
	v_fma_f32 v49, -v40, v45, 1.0
	v_div_scale_f32 v35, s5, v19, s33, v19
	v_dual_fmac_f32 v42, v46, v42 :: v_dual_fmac_f32 v43, v47, v43
	s_delay_alu instid0(VALU_DEP_3) | instskip(SKIP_2) | instid1(VALU_DEP_4)
	v_dual_fmac_f32 v44, v48, v44 :: v_dual_fmac_f32 v45, v49, v45
	v_fma_f32 v49, -v22, v50, v23
	v_div_scale_f32 v25, s1, v7, s33, v7
	v_mul_f32_e32 v53, v35, v43
	v_div_scale_f32 v27, s2, v8, s33, v8
	s_delay_alu instid0(VALU_DEP_4) | instskip(SKIP_2) | instid1(VALU_DEP_3)
	v_fmac_f32_e32 v50, v49, v30
	v_div_scale_f32 v29, s3, v9, s33, v9
	v_div_scale_f32 v32, s4, v18, s33, v18
	v_fma_f32 v22, -v22, v50, v23
	v_dual_mul_f32 v46, v25, v33 :: v_dual_mul_f32 v47, v27, v36
	s_delay_alu instid0(VALU_DEP_3) | instskip(SKIP_1) | instid1(VALU_DEP_3)
	v_dual_mul_f32 v48, v29, v39 :: v_dual_mul_f32 v51, v32, v42
	s_wait_alu 0xfffd
	v_div_fmas_f32 v22, v22, v30, v50
	v_div_scale_f32 v38, s6, v20, s33, v20
	v_fma_f32 v52, -v24, v46, v25
	v_fma_f32 v54, -v26, v47, v27
	s_delay_alu instid0(VALU_DEP_4) | instskip(SKIP_1) | instid1(VALU_DEP_4)
	v_div_fixup_f32 v6, v22, s33, v6
	v_fma_f32 v49, -v31, v51, v32
	v_dual_mul_f32 v55, v38, v44 :: v_dual_fmac_f32 v46, v52, v33
	s_mov_b32 vcc_lo, s4
	s_delay_alu instid0(VALU_DEP_3) | instskip(NEXT) | instid1(VALU_DEP_3)
	v_cvt_f16_f32_e32 v6, v6
	v_fmac_f32_e32 v51, v49, v42
	v_fma_f32 v52, -v34, v53, v35
	v_fma_f32 v23, -v24, v46, v25
	v_div_scale_f32 v41, s7, v21, s33, v21
	v_cvt_f32_f16_e32 v6, v6
	v_fmac_f32_e32 v47, v54, v36
	v_fma_f32 v56, -v28, v48, v29
	v_fma_f32 v54, -v37, v55, v38
	v_mul_f32_e32 v57, v41, v45
	v_cmp_le_i32_e64 s0, s11, v5
	v_fma_f32 v24, -v26, v47, v27
	v_fma_f32 v26, -v31, v51, v32
	v_dual_fmac_f32 v48, v56, v39 :: v_dual_fmac_f32 v55, v54, v44
	v_fma_f32 v56, -v40, v57, v41
	s_or_b32 s24, s0, s24
	s_wait_alu 0xfffe
	v_div_fmas_f32 v22, v26, v42, v51
	s_mov_b32 vcc_lo, s1
	v_fma_f32 v25, -v28, v48, v29
	s_wait_alu 0xfffe
	v_div_fmas_f32 v23, v23, v33, v46
	s_mov_b32 vcc_lo, s5
	v_div_fixup_f32 v18, v22, s33, v18
	v_fma_f32 v28, -v37, v55, v38
	v_fmac_f32_e32 v57, v56, v45
	v_div_fixup_f32 v7, v23, s33, v7
	s_delay_alu instid0(VALU_DEP_4) | instskip(NEXT) | instid1(VALU_DEP_3)
	v_cvt_f16_f32_e32 v18, v18
	v_fma_f32 v29, -v40, v57, v41
	s_delay_alu instid0(VALU_DEP_3) | instskip(NEXT) | instid1(VALU_DEP_3)
	v_cvt_f16_f32_e32 v7, v7
	v_cvt_f32_f16_e32 v18, v18
	v_fmac_f32_e32 v53, v52, v43
	s_delay_alu instid0(VALU_DEP_3) | instskip(NEXT) | instid1(VALU_DEP_2)
	v_cvt_f32_f16_e32 v7, v7
	v_fma_f32 v27, -v34, v53, v35
	s_delay_alu instid0(VALU_DEP_2) | instskip(SKIP_1) | instid1(VALU_DEP_2)
	v_cmp_nlg_f32_e64 s1, 0x7f800000, |v7|
	s_wait_alu 0xfffe
	v_div_fmas_f32 v26, v27, v43, v53
	s_mov_b32 vcc_lo, s2
	s_wait_alu 0xfffe
	v_div_fmas_f32 v22, v24, v36, v47
	s_mov_b32 vcc_lo, s6
	v_div_fixup_f32 v19, v26, s33, v19
	s_wait_alu 0xfffe
	v_div_fmas_f32 v23, v28, v44, v55
	s_mov_b32 vcc_lo, s3
	v_div_fixup_f32 v8, v22, s33, v8
	;; [unrolled: 4-line block ×3, first 2 shown]
	s_wait_alu 0xfffe
	v_div_fmas_f32 v22, v29, v45, v57
	v_cvt_f16_f32_e32 v19, v19
	v_med3_num_f32 v23, v6, s34, 0xc3e00000
	v_cmp_nlg_f32_e64 vcc_lo, 0x7f800000, |v6|
	v_div_fixup_f32 v9, v24, s33, v9
	v_cvt_f16_f32_e32 v8, v8
	v_div_fixup_f32 v21, v22, s33, v21
	v_cvt_f16_f32_e32 v20, v20
	v_cvt_f32_f16_e32 v19, v19
	s_wait_alu 0xfffd
	v_cndmask_b32_e32 v6, v23, v6, vcc_lo
	v_med3_num_f32 v22, v18, s34, 0xc3e00000
	v_cmp_nlg_f32_e64 vcc_lo, 0x7f800000, |v18|
	v_cvt_f16_f32_e32 v9, v9
	v_cvt_f32_f16_e32 v8, v8
	v_med3_num_f32 v23, v7, s34, 0xc3e00000
	v_cvt_f16_f32_e32 v21, v21
	v_cvt_f32_f16_e32 v20, v20
	v_med3_num_f32 v24, v19, s34, 0xc3e00000
	v_cmp_nlg_f32_e64 s2, 0x7f800000, |v19|
	v_cvt_pk_fp8_f32 v10, v6, v6
	s_wait_alu 0xfffd
	v_cndmask_b32_e32 v6, v22, v18, vcc_lo
	v_cvt_f32_f16_e32 v9, v9
	v_med3_num_f32 v18, v8, s34, 0xc3e00000
	v_cmp_nlg_f32_e64 vcc_lo, 0x7f800000, |v8|
	v_cndmask_b32_e64 v7, v23, v7, s1
	v_cvt_f32_f16_e32 v21, v21
	v_med3_num_f32 v22, v20, s34, 0xc3e00000
	v_cmp_nlg_f32_e64 s1, 0x7f800000, |v20|
	s_wait_alu 0xf1ff
	v_cndmask_b32_e64 v19, v24, v19, s2
	v_cvt_pk_fp8_f32 v11, v6, v6
	v_med3_num_f32 v6, v9, s34, 0xc3e00000
	v_cmp_nlg_f32_e64 s2, 0x7f800000, |v9|
	s_wait_alu 0xfffd
	v_cndmask_b32_e32 v8, v18, v8, vcc_lo
	v_cvt_pk_fp8_f32 v12, v7, v7
	v_med3_num_f32 v7, v21, s34, 0xc3e00000
	v_cmp_nlg_f32_e64 vcc_lo, 0x7f800000, |v21|
	v_cndmask_b32_e64 v18, v22, v20, s1
	s_wait_alu 0xf1ff
	v_cndmask_b32_e64 v6, v6, v9, s2
	v_cvt_pk_fp8_f32 v13, v19, v19
	v_lshlrev_b32_e32 v9, 8, v11
	v_cvt_pk_fp8_f32 v14, v8, v8
	v_lshlrev_b32_e32 v8, 16, v12
	v_cvt_pk_fp8_f32 v15, v18, v18
	s_wait_alu 0xfffd
	v_cndmask_b32_e32 v7, v7, v21, vcc_lo
	v_cvt_pk_fp8_f32 v16, v6, v6
	v_and_b32_e32 v10, 0xff, v10
	v_and_b32_e32 v6, 0xff00, v9
	;; [unrolled: 1-line block ×3, first 2 shown]
	v_cvt_pk_fp8_f32 v17, v7, v7
	v_perm_b32 v7, v13, v8, 0x4020c0c
	v_and_b32_e32 v8, 0xff, v15
	v_and_b32_e32 v11, 0xff, v16
	s_delay_alu instid0(VALU_DEP_4) | instskip(NEXT) | instid1(VALU_DEP_4)
	v_lshlrev_b32_e32 v12, 24, v17
	v_or3_b32 v6, v7, v6, v10
	s_delay_alu instid0(VALU_DEP_4) | instskip(NEXT) | instid1(VALU_DEP_4)
	v_lshlrev_b32_e32 v7, 8, v8
	v_lshlrev_b32_e32 v8, 16, v11
	s_delay_alu instid0(VALU_DEP_1) | instskip(NEXT) | instid1(VALU_DEP_1)
	v_or_b32_e32 v8, v12, v8
	v_or3_b32 v7, v8, v7, v9
	global_store_b64 v[1:2], v[6:7], off
	v_add_co_u32 v1, vcc_lo, v1, s25
	s_wait_alu 0xfffd
	v_add_co_ci_u32_e64 v2, null, 0, v2, vcc_lo
	s_and_not1_b32 exec_lo, exec_lo, s24
	s_cbranch_execnz .LBB18_62
.LBB18_63:
	s_or_b32 exec_lo, exec_lo, s17
	v_lshl_add_u32 v1, s11, 3, v0
	s_mov_b32 s1, exec_lo
	s_delay_alu instid0(VALU_DEP_1)
	v_cmpx_gt_i32_e64 s16, v1
	s_cbranch_execz .LBB18_66
; %bb.64:
	v_ashrrev_i32_e32 v2, 31, v1
	s_lshl_b64 s[2:3], s[8:9], 1
	s_wait_alu 0xfffe
	s_add_nc_u64 s[6:7], s[18:19], s[12:13]
	s_add_nc_u64 s[2:3], s[30:31], s[2:3]
	s_mov_b32 s11, 0
	v_lshlrev_b64_e32 v[3:4], 1, v[1:2]
	s_wait_alu 0xfffe
	s_add_nc_u64 s[2:3], s[14:15], s[2:3]
	s_lshl_b32 s4, s10, 1
	s_mov_b32 s5, 0x43e00000
	s_wait_alu 0xfffe
	v_add_co_u32 v3, vcc_lo, s2, v3
	s_wait_alu 0xfffd
	v_add_co_ci_u32_e64 v4, null, s3, v4, vcc_lo
	v_add_co_u32 v5, vcc_lo, s6, v1
	s_wait_alu 0xfffd
	v_add_co_ci_u32_e64 v2, null, s7, v2, vcc_lo
	s_mov_b64 s[2:3], 0
	s_mov_b32 s6, s11
.LBB18_65:                              ; =>This Inner Loop Header: Depth=1
	global_load_u16 v6, v[3:4], off
	s_wait_loadcnt 0x0
	v_cvt_f32_f16_e32 v6, v6
	s_wait_kmcnt 0x0
	s_delay_alu instid0(VALU_DEP_1) | instskip(SKIP_1) | instid1(VALU_DEP_2)
	v_div_scale_f32 v7, null, s33, s33, v6
	v_div_scale_f32 v10, vcc_lo, v6, s33, v6
	v_rcp_f32_e32 v8, v7
	s_delay_alu instid0(TRANS32_DEP_1) | instskip(NEXT) | instid1(VALU_DEP_1)
	v_fma_f32 v9, -v7, v8, 1.0
	v_fmac_f32_e32 v8, v9, v8
	s_delay_alu instid0(VALU_DEP_1) | instskip(NEXT) | instid1(VALU_DEP_1)
	v_mul_f32_e32 v9, v10, v8
	v_fma_f32 v11, -v7, v9, v10
	s_delay_alu instid0(VALU_DEP_1) | instskip(NEXT) | instid1(VALU_DEP_1)
	v_fmac_f32_e32 v9, v11, v8
	v_fma_f32 v7, -v7, v9, v10
	v_mov_b32_e32 v10, 0
	s_wait_alu 0xfffd
	s_delay_alu instid0(VALU_DEP_2) | instskip(NEXT) | instid1(VALU_DEP_1)
	v_div_fmas_f32 v7, v7, v8, v9
	v_div_fixup_f32 v6, v7, s33, v6
	s_delay_alu instid0(VALU_DEP_1) | instskip(SKIP_2) | instid1(VALU_DEP_2)
	v_cvt_f16_f32_e32 v7, v6
	s_wait_alu 0xfffe
	v_add_co_u32 v6, vcc_lo, v5, s2
	v_cvt_f32_f16_e32 v8, v7
	s_wait_alu 0xfffd
	v_add_co_ci_u32_e64 v7, null, s3, v2, vcc_lo
	s_add_nc_u64 s[2:3], s[2:3], s[10:11]
	s_wait_alu 0xfffe
	v_add_nc_u32_e32 v11, s2, v1
	v_med3_num_f32 v9, v8, s5, 0xc3e00000
	v_cmp_nlg_f32_e64 vcc_lo, 0x7f800000, |v8|
	s_delay_alu instid0(VALU_DEP_3) | instskip(SKIP_1) | instid1(VALU_DEP_3)
	v_cmp_le_i32_e64 s0, s16, v11
	s_wait_alu 0xfffd
	v_cndmask_b32_e32 v8, v9, v8, vcc_lo
	v_add_co_u32 v3, vcc_lo, v3, s4
	s_wait_alu 0xfffd
	v_add_co_ci_u32_e64 v4, null, 0, v4, vcc_lo
	s_delay_alu instid0(VALU_DEP_3)
	v_cvt_pk_fp8_f32 v10, v8, v8
	s_or_b32 s6, s0, s6
	global_store_b8 v[6:7], v10, off
	s_wait_alu 0xfffe
	s_and_not1_b32 exec_lo, exec_lo, s6
	s_cbranch_execnz .LBB18_65
.LBB18_66:
	s_wait_alu 0xfffe
	s_or_b32 exec_lo, exec_lo, s1
	s_mov_b32 s0, 0
.LBB18_67:
	s_wait_alu 0xfffe
	s_and_b32 vcc_lo, exec_lo, s0
	s_wait_alu 0xfffe
	s_cbranch_vccz .LBB18_71
; %bb.68:
	s_ashr_i32 s8, s28, 3
	s_mov_b32 s0, exec_lo
	s_wait_alu 0xfffe
	v_cmpx_gt_i32_e64 s8, v0
	s_cbranch_execz .LBB18_71
; %bb.69:
	v_lshlrev_b32_e32 v1, 3, v0
	s_add_nc_u64 s[0:1], s[26:27], s[22:23]
	v_lshlrev_b32_e32 v3, 4, v0
	s_wait_alu 0xfffe
	s_add_nc_u64 s[0:1], s[18:19], s[0:1]
	s_mov_b32 s9, 0
	s_wait_alu 0xfffe
	v_add_co_u32 v1, s0, s0, v1
	s_wait_alu 0xf1ff
	v_add_co_ci_u32_e64 v2, null, s1, 0, s0
	v_add_co_u32 v3, s0, s20, v3
	s_wait_alu 0xf1ff
	v_add_co_ci_u32_e64 v4, null, s21, 0, s0
	s_lshl_b32 s11, s10, 3
	s_lshl_b32 s12, s10, 4
	s_mov_b32 s13, 0x43e00000
.LBB18_70:                              ; =>This Inner Loop Header: Depth=1
	global_load_b128 v[5:8], v[3:4], off
	s_wait_alu 0xfffe
	v_add_co_u32 v3, vcc_lo, v3, s12
	s_wait_alu 0xfffd
	v_add_co_ci_u32_e64 v4, null, 0, v4, vcc_lo
	v_dual_mov_b32 v9, 0 :: v_dual_mov_b32 v10, 0
	v_dual_mov_b32 v11, 0 :: v_dual_mov_b32 v12, 0
	;; [unrolled: 1-line block ×4, first 2 shown]
	s_wait_loadcnt 0x0
	v_lshrrev_b32_e32 v17, 16, v5
	v_cvt_f32_f16_e32 v5, v5
	v_lshrrev_b32_e32 v18, 16, v6
	v_lshrrev_b32_e32 v19, 16, v7
	;; [unrolled: 1-line block ×3, first 2 shown]
	v_cvt_f32_f16_e32 v6, v6
	v_cvt_f32_f16_e32 v7, v7
	;; [unrolled: 1-line block ×3, first 2 shown]
	s_wait_kmcnt 0x0
	v_div_scale_f32 v21, null, s33, s33, v5
	v_cvt_f32_f16_e32 v17, v17
	v_div_scale_f32 v23, null, s33, s33, v6
	v_cvt_f32_f16_e32 v18, v18
	;; [unrolled: 2-line block ×4, first 2 shown]
	v_rcp_f32_e32 v29, v21
	v_div_scale_f32 v30, null, s33, s33, v17
	v_rcp_f32_e32 v32, v23
	v_div_scale_f32 v33, null, s33, s33, v18
	;; [unrolled: 2-line block ×4, first 2 shown]
	v_rcp_f32_e32 v41, v30
	v_rcp_f32_e32 v42, v33
	;; [unrolled: 1-line block ×3, first 2 shown]
	s_delay_alu instid0(VALU_DEP_1)
	v_rcp_f32_e32 v44, v39
	v_fma_f32 v45, -v21, v29, 1.0
	v_add_nc_u32_e32 v0, s10, v0
	v_div_scale_f32 v22, vcc_lo, v5, s33, v5
	v_fma_f32 v46, -v23, v32, 1.0
	v_fma_f32 v47, -v25, v35, 1.0
	;; [unrolled: 1-line block ×3, first 2 shown]
	v_fmac_f32_e32 v29, v45, v29
	v_fma_f32 v45, -v30, v41, 1.0
	s_delay_alu instid0(VALU_DEP_4)
	v_dual_fmac_f32 v32, v46, v32 :: v_dual_fmac_f32 v35, v47, v35
	v_fma_f32 v46, -v33, v42, 1.0
	v_fma_f32 v47, -v36, v43, 1.0
	v_dual_fmac_f32 v38, v48, v38 :: v_dual_mul_f32 v49, v22, v29
	v_fma_f32 v48, -v39, v44, 1.0
	v_div_scale_f32 v34, s5, v18, s33, v18
	v_dual_fmac_f32 v41, v45, v41 :: v_dual_fmac_f32 v42, v46, v42
	s_delay_alu instid0(VALU_DEP_3) | instskip(SKIP_2) | instid1(VALU_DEP_4)
	v_dual_fmac_f32 v43, v47, v43 :: v_dual_fmac_f32 v44, v48, v44
	v_fma_f32 v48, -v21, v49, v22
	v_div_scale_f32 v24, s1, v6, s33, v6
	v_mul_f32_e32 v52, v34, v42
	v_div_scale_f32 v26, s2, v7, s33, v7
	s_delay_alu instid0(VALU_DEP_4) | instskip(SKIP_2) | instid1(VALU_DEP_3)
	v_fmac_f32_e32 v49, v48, v29
	v_div_scale_f32 v28, s3, v8, s33, v8
	v_div_scale_f32 v31, s4, v17, s33, v17
	v_fma_f32 v21, -v21, v49, v22
	v_dual_mul_f32 v45, v24, v32 :: v_dual_mul_f32 v46, v26, v35
	s_delay_alu instid0(VALU_DEP_3) | instskip(SKIP_1) | instid1(VALU_DEP_3)
	v_dual_mul_f32 v47, v28, v38 :: v_dual_mul_f32 v50, v31, v41
	s_wait_alu 0xfffd
	v_div_fmas_f32 v21, v21, v29, v49
	v_div_scale_f32 v37, s6, v19, s33, v19
	v_fma_f32 v51, -v23, v45, v24
	v_fma_f32 v53, -v25, v46, v26
	s_delay_alu instid0(VALU_DEP_4) | instskip(SKIP_1) | instid1(VALU_DEP_4)
	v_div_fixup_f32 v5, v21, s33, v5
	v_fma_f32 v48, -v30, v50, v31
	v_dual_mul_f32 v54, v37, v43 :: v_dual_fmac_f32 v45, v51, v32
	s_mov_b32 vcc_lo, s4
	s_delay_alu instid0(VALU_DEP_3) | instskip(NEXT) | instid1(VALU_DEP_3)
	v_cvt_f16_f32_e32 v5, v5
	v_fmac_f32_e32 v50, v48, v41
	v_fma_f32 v51, -v33, v52, v34
	v_fma_f32 v22, -v23, v45, v24
	v_div_scale_f32 v40, s7, v20, s33, v20
	v_cvt_f32_f16_e32 v5, v5
	v_fmac_f32_e32 v46, v53, v35
	v_fma_f32 v55, -v27, v47, v28
	v_fma_f32 v53, -v36, v54, v37
	v_mul_f32_e32 v56, v40, v44
	v_cmp_le_i32_e64 s0, s8, v0
	v_fma_f32 v23, -v25, v46, v26
	v_fma_f32 v25, -v30, v50, v31
	v_dual_fmac_f32 v47, v55, v38 :: v_dual_fmac_f32 v54, v53, v43
	v_fma_f32 v55, -v39, v56, v40
	s_or_b32 s9, s0, s9
	s_wait_alu 0xfffe
	v_div_fmas_f32 v21, v25, v41, v50
	s_mov_b32 vcc_lo, s1
	v_fma_f32 v24, -v27, v47, v28
	s_wait_alu 0xfffe
	v_div_fmas_f32 v22, v22, v32, v45
	s_mov_b32 vcc_lo, s5
	v_div_fixup_f32 v17, v21, s33, v17
	v_fma_f32 v27, -v36, v54, v37
	v_fmac_f32_e32 v56, v55, v44
	v_div_fixup_f32 v6, v22, s33, v6
	s_delay_alu instid0(VALU_DEP_4) | instskip(NEXT) | instid1(VALU_DEP_3)
	v_cvt_f16_f32_e32 v17, v17
	v_fma_f32 v28, -v39, v56, v40
	s_delay_alu instid0(VALU_DEP_3) | instskip(NEXT) | instid1(VALU_DEP_3)
	v_cvt_f16_f32_e32 v6, v6
	v_cvt_f32_f16_e32 v17, v17
	v_fmac_f32_e32 v52, v51, v42
	s_delay_alu instid0(VALU_DEP_3) | instskip(NEXT) | instid1(VALU_DEP_2)
	v_cvt_f32_f16_e32 v6, v6
	v_fma_f32 v26, -v33, v52, v34
	s_delay_alu instid0(VALU_DEP_2) | instskip(SKIP_1) | instid1(VALU_DEP_2)
	v_cmp_nlg_f32_e64 s1, 0x7f800000, |v6|
	s_wait_alu 0xfffe
	v_div_fmas_f32 v25, v26, v42, v52
	s_mov_b32 vcc_lo, s2
	s_wait_alu 0xfffe
	v_div_fmas_f32 v21, v23, v35, v46
	s_mov_b32 vcc_lo, s6
	v_div_fixup_f32 v18, v25, s33, v18
	s_wait_alu 0xfffe
	v_div_fmas_f32 v22, v27, v43, v54
	s_mov_b32 vcc_lo, s3
	v_div_fixup_f32 v7, v21, s33, v7
	;; [unrolled: 4-line block ×3, first 2 shown]
	s_wait_alu 0xfffe
	v_div_fmas_f32 v21, v28, v44, v56
	v_cvt_f16_f32_e32 v18, v18
	v_med3_num_f32 v22, v5, s13, 0xc3e00000
	v_cmp_nlg_f32_e64 vcc_lo, 0x7f800000, |v5|
	v_div_fixup_f32 v8, v23, s33, v8
	v_cvt_f16_f32_e32 v7, v7
	v_div_fixup_f32 v20, v21, s33, v20
	v_cvt_f16_f32_e32 v19, v19
	v_cvt_f32_f16_e32 v18, v18
	s_wait_alu 0xfffd
	v_cndmask_b32_e32 v5, v22, v5, vcc_lo
	v_med3_num_f32 v21, v17, s13, 0xc3e00000
	v_cmp_nlg_f32_e64 vcc_lo, 0x7f800000, |v17|
	v_cvt_f16_f32_e32 v8, v8
	v_cvt_f32_f16_e32 v7, v7
	v_med3_num_f32 v22, v6, s13, 0xc3e00000
	v_cvt_f16_f32_e32 v20, v20
	v_cvt_f32_f16_e32 v19, v19
	v_med3_num_f32 v23, v18, s13, 0xc3e00000
	v_cmp_nlg_f32_e64 s2, 0x7f800000, |v18|
	v_cvt_pk_fp8_f32 v9, v5, v5
	s_wait_alu 0xfffd
	v_cndmask_b32_e32 v5, v21, v17, vcc_lo
	v_cvt_f32_f16_e32 v8, v8
	v_med3_num_f32 v17, v7, s13, 0xc3e00000
	v_cmp_nlg_f32_e64 vcc_lo, 0x7f800000, |v7|
	v_cndmask_b32_e64 v6, v22, v6, s1
	v_cvt_f32_f16_e32 v20, v20
	v_med3_num_f32 v21, v19, s13, 0xc3e00000
	v_cmp_nlg_f32_e64 s1, 0x7f800000, |v19|
	s_wait_alu 0xf1ff
	v_cndmask_b32_e64 v18, v23, v18, s2
	v_cvt_pk_fp8_f32 v10, v5, v5
	v_med3_num_f32 v5, v8, s13, 0xc3e00000
	v_cmp_nlg_f32_e64 s2, 0x7f800000, |v8|
	s_wait_alu 0xfffd
	v_cndmask_b32_e32 v7, v17, v7, vcc_lo
	v_cvt_pk_fp8_f32 v11, v6, v6
	v_med3_num_f32 v6, v20, s13, 0xc3e00000
	v_cmp_nlg_f32_e64 vcc_lo, 0x7f800000, |v20|
	v_cndmask_b32_e64 v17, v21, v19, s1
	s_wait_alu 0xf1ff
	v_cndmask_b32_e64 v5, v5, v8, s2
	v_cvt_pk_fp8_f32 v12, v18, v18
	v_lshlrev_b32_e32 v8, 8, v10
	v_cvt_pk_fp8_f32 v13, v7, v7
	v_lshlrev_b32_e32 v7, 16, v11
	v_cvt_pk_fp8_f32 v14, v17, v17
	s_wait_alu 0xfffd
	v_cndmask_b32_e32 v6, v6, v20, vcc_lo
	v_cvt_pk_fp8_f32 v15, v5, v5
	v_and_b32_e32 v9, 0xff, v9
	v_and_b32_e32 v5, 0xff00, v8
	;; [unrolled: 1-line block ×3, first 2 shown]
	v_cvt_pk_fp8_f32 v16, v6, v6
	v_perm_b32 v6, v12, v7, 0x4020c0c
	v_and_b32_e32 v7, 0xff, v14
	v_and_b32_e32 v10, 0xff, v15
	s_delay_alu instid0(VALU_DEP_4) | instskip(NEXT) | instid1(VALU_DEP_4)
	v_lshlrev_b32_e32 v11, 24, v16
	v_or3_b32 v5, v6, v5, v9
	s_delay_alu instid0(VALU_DEP_4) | instskip(NEXT) | instid1(VALU_DEP_4)
	v_lshlrev_b32_e32 v6, 8, v7
	v_lshlrev_b32_e32 v7, 16, v10
	s_delay_alu instid0(VALU_DEP_1) | instskip(NEXT) | instid1(VALU_DEP_1)
	v_or_b32_e32 v7, v11, v7
	v_or3_b32 v6, v7, v6, v8
	global_store_b64 v[1:2], v[5:6], off
	v_add_co_u32 v1, vcc_lo, v1, s11
	s_wait_alu 0xfffd
	v_add_co_ci_u32_e64 v2, null, 0, v2, vcc_lo
	s_and_not1_b32 exec_lo, exec_lo, s9
	s_cbranch_execnz .LBB18_70
.LBB18_71:
	s_endpgm
.LBB18_72:
                                        ; implicit-def: $sgpr8_sgpr9
	s_load_b256 s[12:19], s[0:1], 0x0
	s_branch .LBB18_3
	.section	.rodata,"a",@progbits
	.p2align	6, 0x0
	.amdhsa_kernel _ZN4vllm30reshape_and_cache_flash_kernelIthLNS_18Fp8KVCacheDataTypeE1EEEvPKT_S4_PT0_S6_PKlllllliiiPKfSA_
		.amdhsa_group_segment_fixed_size 0
		.amdhsa_private_segment_fixed_size 0
		.amdhsa_kernarg_size 368
		.amdhsa_user_sgpr_count 2
		.amdhsa_user_sgpr_dispatch_ptr 0
		.amdhsa_user_sgpr_queue_ptr 0
		.amdhsa_user_sgpr_kernarg_segment_ptr 1
		.amdhsa_user_sgpr_dispatch_id 0
		.amdhsa_user_sgpr_private_segment_size 0
		.amdhsa_wavefront_size32 1
		.amdhsa_uses_dynamic_stack 0
		.amdhsa_enable_private_segment 0
		.amdhsa_system_sgpr_workgroup_id_x 1
		.amdhsa_system_sgpr_workgroup_id_y 0
		.amdhsa_system_sgpr_workgroup_id_z 0
		.amdhsa_system_sgpr_workgroup_info 0
		.amdhsa_system_vgpr_workitem_id 0
		.amdhsa_next_free_vgpr 87
		.amdhsa_next_free_sgpr 53
		.amdhsa_reserve_vcc 1
		.amdhsa_float_round_mode_32 0
		.amdhsa_float_round_mode_16_64 0
		.amdhsa_float_denorm_mode_32 3
		.amdhsa_float_denorm_mode_16_64 3
		.amdhsa_fp16_overflow 0
		.amdhsa_workgroup_processor_mode 1
		.amdhsa_memory_ordered 1
		.amdhsa_forward_progress 1
		.amdhsa_inst_pref_size 129
		.amdhsa_round_robin_scheduling 0
		.amdhsa_exception_fp_ieee_invalid_op 0
		.amdhsa_exception_fp_denorm_src 0
		.amdhsa_exception_fp_ieee_div_zero 0
		.amdhsa_exception_fp_ieee_overflow 0
		.amdhsa_exception_fp_ieee_underflow 0
		.amdhsa_exception_fp_ieee_inexact 0
		.amdhsa_exception_int_div_zero 0
	.end_amdhsa_kernel
	.section	.text._ZN4vllm30reshape_and_cache_flash_kernelIthLNS_18Fp8KVCacheDataTypeE1EEEvPKT_S4_PT0_S6_PKlllllliiiPKfSA_,"axG",@progbits,_ZN4vllm30reshape_and_cache_flash_kernelIthLNS_18Fp8KVCacheDataTypeE1EEEvPKT_S4_PT0_S6_PKlllllliiiPKfSA_,comdat
.Lfunc_end18:
	.size	_ZN4vllm30reshape_and_cache_flash_kernelIthLNS_18Fp8KVCacheDataTypeE1EEEvPKT_S4_PT0_S6_PKlllllliiiPKfSA_, .Lfunc_end18-_ZN4vllm30reshape_and_cache_flash_kernelIthLNS_18Fp8KVCacheDataTypeE1EEEvPKT_S4_PT0_S6_PKlllllliiiPKfSA_
                                        ; -- End function
	.set _ZN4vllm30reshape_and_cache_flash_kernelIthLNS_18Fp8KVCacheDataTypeE1EEEvPKT_S4_PT0_S6_PKlllllliiiPKfSA_.num_vgpr, 87
	.set _ZN4vllm30reshape_and_cache_flash_kernelIthLNS_18Fp8KVCacheDataTypeE1EEEvPKT_S4_PT0_S6_PKlllllliiiPKfSA_.num_agpr, 0
	.set _ZN4vllm30reshape_and_cache_flash_kernelIthLNS_18Fp8KVCacheDataTypeE1EEEvPKT_S4_PT0_S6_PKlllllliiiPKfSA_.numbered_sgpr, 53
	.set _ZN4vllm30reshape_and_cache_flash_kernelIthLNS_18Fp8KVCacheDataTypeE1EEEvPKT_S4_PT0_S6_PKlllllliiiPKfSA_.num_named_barrier, 0
	.set _ZN4vllm30reshape_and_cache_flash_kernelIthLNS_18Fp8KVCacheDataTypeE1EEEvPKT_S4_PT0_S6_PKlllllliiiPKfSA_.private_seg_size, 0
	.set _ZN4vllm30reshape_and_cache_flash_kernelIthLNS_18Fp8KVCacheDataTypeE1EEEvPKT_S4_PT0_S6_PKlllllliiiPKfSA_.uses_vcc, 1
	.set _ZN4vllm30reshape_and_cache_flash_kernelIthLNS_18Fp8KVCacheDataTypeE1EEEvPKT_S4_PT0_S6_PKlllllliiiPKfSA_.uses_flat_scratch, 0
	.set _ZN4vllm30reshape_and_cache_flash_kernelIthLNS_18Fp8KVCacheDataTypeE1EEEvPKT_S4_PT0_S6_PKlllllliiiPKfSA_.has_dyn_sized_stack, 0
	.set _ZN4vllm30reshape_and_cache_flash_kernelIthLNS_18Fp8KVCacheDataTypeE1EEEvPKT_S4_PT0_S6_PKlllllliiiPKfSA_.has_recursion, 0
	.set _ZN4vllm30reshape_and_cache_flash_kernelIthLNS_18Fp8KVCacheDataTypeE1EEEvPKT_S4_PT0_S6_PKlllllliiiPKfSA_.has_indirect_call, 0
	.section	.AMDGPU.csdata,"",@progbits
; Kernel info:
; codeLenInByte = 16464
; TotalNumSgprs: 55
; NumVgprs: 87
; ScratchSize: 0
; MemoryBound: 0
; FloatMode: 240
; IeeeMode: 1
; LDSByteSize: 0 bytes/workgroup (compile time only)
; SGPRBlocks: 0
; VGPRBlocks: 10
; NumSGPRsForWavesPerEU: 55
; NumVGPRsForWavesPerEU: 87
; Occupancy: 16
; WaveLimiterHint : 1
; COMPUTE_PGM_RSRC2:SCRATCH_EN: 0
; COMPUTE_PGM_RSRC2:USER_SGPR: 2
; COMPUTE_PGM_RSRC2:TRAP_HANDLER: 0
; COMPUTE_PGM_RSRC2:TGID_X_EN: 1
; COMPUTE_PGM_RSRC2:TGID_Y_EN: 0
; COMPUTE_PGM_RSRC2:TGID_Z_EN: 0
; COMPUTE_PGM_RSRC2:TIDIG_COMP_CNT: 0
	.section	.text._ZN4vllm30reshape_and_cache_flash_kernelI14__hip_bfloat16hLNS_18Fp8KVCacheDataTypeE1EEEvPKT_S5_PT0_S7_PKlllllliiiPKfSB_,"axG",@progbits,_ZN4vllm30reshape_and_cache_flash_kernelI14__hip_bfloat16hLNS_18Fp8KVCacheDataTypeE1EEEvPKT_S5_PT0_S7_PKlllllliiiPKfSB_,comdat
	.protected	_ZN4vllm30reshape_and_cache_flash_kernelI14__hip_bfloat16hLNS_18Fp8KVCacheDataTypeE1EEEvPKT_S5_PT0_S7_PKlllllliiiPKfSB_ ; -- Begin function _ZN4vllm30reshape_and_cache_flash_kernelI14__hip_bfloat16hLNS_18Fp8KVCacheDataTypeE1EEEvPKT_S5_PT0_S7_PKlllllliiiPKfSB_
	.globl	_ZN4vllm30reshape_and_cache_flash_kernelI14__hip_bfloat16hLNS_18Fp8KVCacheDataTypeE1EEEvPKT_S5_PT0_S7_PKlllllliiiPKfSB_
	.p2align	8
	.type	_ZN4vllm30reshape_and_cache_flash_kernelI14__hip_bfloat16hLNS_18Fp8KVCacheDataTypeE1EEEvPKT_S5_PT0_S7_PKlllllliiiPKfSB_,@function
_ZN4vllm30reshape_and_cache_flash_kernelI14__hip_bfloat16hLNS_18Fp8KVCacheDataTypeE1EEEvPKT_S5_PT0_S7_PKlllllliiiPKfSB_: ; @_ZN4vllm30reshape_and_cache_flash_kernelI14__hip_bfloat16hLNS_18Fp8KVCacheDataTypeE1EEEvPKT_S5_PT0_S7_PKlllllliiiPKfSB_
; %bb.0:
	s_load_b64 s[4:5], s[0:1], 0x20
	s_mov_b32 s2, ttmp9
	s_mov_b32 s3, 0
	s_delay_alu instid0(SALU_CYCLE_1)
	s_lshl_b64 s[6:7], s[2:3], 3
	s_wait_kmcnt 0x0
	s_add_nc_u64 s[4:5], s[4:5], s[6:7]
	s_load_b64 s[4:5], s[4:5], 0x0
	s_wait_kmcnt 0x0
	v_cmp_lt_i64_e64 s6, s[4:5], 0
	s_and_b32 vcc_lo, exec_lo, s6
	s_cbranch_vccnz .LBB19_71
; %bb.1:
	s_load_b96 s[28:30], s[0:1], 0x50
	s_wait_kmcnt 0x0
	s_ashr_i32 s7, s30, 31
	s_mov_b32 s6, s30
	s_delay_alu instid0(SALU_CYCLE_1) | instskip(SKIP_1) | instid1(SALU_CYCLE_1)
	s_or_b64 s[8:9], s[4:5], s[6:7]
	s_mov_b32 s8, s3
	s_cmp_lg_u64 s[8:9], 0
	s_cbranch_scc0 .LBB19_72
; %bb.2:
	s_ashr_i32 s8, s7, 31
	s_delay_alu instid0(SALU_CYCLE_1) | instskip(NEXT) | instid1(SALU_CYCLE_1)
	s_mov_b32 s9, s8
	s_add_nc_u64 s[10:11], s[6:7], s[8:9]
	s_delay_alu instid0(SALU_CYCLE_1) | instskip(NEXT) | instid1(SALU_CYCLE_1)
	s_xor_b64 s[12:13], s[10:11], s[8:9]
	s_cvt_f32_u32 s10, s12
	s_cvt_f32_u32 s11, s13
	s_sub_nc_u64 s[16:17], 0, s[12:13]
	s_delay_alu instid0(SALU_CYCLE_2) | instskip(NEXT) | instid1(SALU_CYCLE_3)
	s_fmamk_f32 s10, s11, 0x4f800000, s10
	v_s_rcp_f32 s10, s10
	s_delay_alu instid0(TRANS32_DEP_1) | instskip(SKIP_1) | instid1(SALU_CYCLE_2)
	s_mul_f32 s10, s10, 0x5f7ffffc
	s_wait_alu 0xfffe
	s_mul_f32 s11, s10, 0x2f800000
	s_wait_alu 0xfffe
	s_delay_alu instid0(SALU_CYCLE_2) | instskip(SKIP_1) | instid1(SALU_CYCLE_2)
	s_trunc_f32 s11, s11
	s_wait_alu 0xfffe
	s_fmamk_f32 s10, s11, 0xcf800000, s10
	s_cvt_u32_f32 s15, s11
	s_mov_b32 s11, 0
	s_wait_alu 0xfffe
	s_cvt_u32_f32 s14, s10
	s_delay_alu instid0(SALU_CYCLE_3) | instskip(NEXT) | instid1(SALU_CYCLE_1)
	s_mul_u64 s[18:19], s[16:17], s[14:15]
	s_mul_hi_u32 s21, s14, s19
	s_mul_i32 s20, s14, s19
	s_mul_hi_u32 s10, s14, s18
	s_mul_i32 s23, s15, s18
	s_wait_alu 0xfffe
	s_add_nc_u64 s[20:21], s[10:11], s[20:21]
	s_mul_hi_u32 s22, s15, s18
	s_mul_hi_u32 s24, s15, s19
	s_add_co_u32 s10, s20, s23
	s_add_co_ci_u32 s10, s21, s22
	s_mul_i32 s18, s15, s19
	s_add_co_ci_u32 s19, s24, 0
	s_wait_alu 0xfffe
	s_add_nc_u64 s[18:19], s[10:11], s[18:19]
	s_delay_alu instid0(SALU_CYCLE_1) | instskip(SKIP_4) | instid1(SALU_CYCLE_1)
	s_add_co_u32 s14, s14, s18
	s_cselect_b32 s10, -1, 0
	s_wait_alu 0xfffe
	s_cmp_lg_u32 s10, 0
	s_add_co_ci_u32 s15, s15, s19
	s_mul_u64 s[16:17], s[16:17], s[14:15]
	s_delay_alu instid0(SALU_CYCLE_1)
	s_mul_hi_u32 s19, s14, s17
	s_mul_i32 s18, s14, s17
	s_mul_hi_u32 s10, s14, s16
	s_mul_i32 s21, s15, s16
	s_wait_alu 0xfffe
	s_add_nc_u64 s[18:19], s[10:11], s[18:19]
	s_mul_hi_u32 s20, s15, s16
	s_mul_hi_u32 s22, s15, s17
	s_add_co_u32 s10, s18, s21
	s_add_co_ci_u32 s10, s19, s20
	s_mul_i32 s16, s15, s17
	s_add_co_ci_u32 s17, s22, 0
	s_wait_alu 0xfffe
	s_add_nc_u64 s[16:17], s[10:11], s[16:17]
	s_delay_alu instid0(SALU_CYCLE_1)
	s_add_co_u32 s20, s14, s16
	s_cselect_b32 s10, -1, 0
	s_wait_alu 0xfffe
	s_cmp_lg_u32 s10, 0
	s_add_co_ci_u32 s21, s15, s17
	s_ashr_i32 s14, s5, 31
	s_delay_alu instid0(SALU_CYCLE_1) | instskip(NEXT) | instid1(SALU_CYCLE_1)
	s_mov_b32 s15, s14
	s_add_nc_u64 s[16:17], s[4:5], s[14:15]
	s_delay_alu instid0(SALU_CYCLE_1) | instskip(NEXT) | instid1(SALU_CYCLE_1)
	s_xor_b64 s[16:17], s[16:17], s[14:15]
	s_mul_hi_u32 s19, s16, s21
	s_mul_i32 s18, s16, s21
	s_mul_hi_u32 s10, s16, s20
	s_mul_i32 s24, s17, s20
	s_wait_alu 0xfffe
	s_add_nc_u64 s[18:19], s[10:11], s[18:19]
	s_mul_hi_u32 s23, s17, s20
	s_mul_hi_u32 s22, s17, s21
	s_add_co_u32 s10, s18, s24
	s_add_co_ci_u32 s10, s19, s23
	s_mul_i32 s20, s17, s21
	s_add_co_ci_u32 s21, s22, 0
	s_wait_alu 0xfffe
	s_add_nc_u64 s[18:19], s[10:11], s[20:21]
	s_delay_alu instid0(SALU_CYCLE_1) | instskip(NEXT) | instid1(SALU_CYCLE_1)
	s_mul_u64 s[20:21], s[12:13], s[18:19]
	s_sub_co_u32 s10, s16, s20
	s_cselect_b32 s16, -1, 0
	s_sub_co_i32 s20, s17, s21
	s_cmp_lg_u32 s16, 0
	s_sub_co_ci_u32 s20, s20, s13
	s_wait_alu 0xfffe
	s_sub_co_u32 s22, s10, s12
	s_cselect_b32 s23, -1, 0
	s_delay_alu instid0(SALU_CYCLE_1) | instskip(SKIP_1) | instid1(SALU_CYCLE_1)
	s_cmp_lg_u32 s23, 0
	s_sub_co_ci_u32 s20, s20, 0
	s_cmp_ge_u32 s20, s13
	s_cselect_b32 s24, -1, 0
	s_cmp_ge_u32 s22, s12
	s_add_nc_u64 s[22:23], s[18:19], 1
	s_cselect_b32 s25, -1, 0
	s_cmp_eq_u32 s20, s13
	s_cselect_b32 s20, s25, s24
	s_add_nc_u64 s[24:25], s[18:19], 2
	s_cmp_lg_u32 s20, 0
	s_cselect_b32 s20, s24, s22
	s_cselect_b32 s22, s25, s23
	s_cmp_lg_u32 s16, 0
	s_sub_co_ci_u32 s16, s17, s21
	s_delay_alu instid0(SALU_CYCLE_1)
	s_cmp_ge_u32 s16, s13
	s_cselect_b32 s17, -1, 0
	s_cmp_ge_u32 s10, s12
	s_cselect_b32 s10, -1, 0
	s_cmp_eq_u32 s16, s13
	s_wait_alu 0xfffe
	s_cselect_b32 s10, s10, s17
	s_wait_alu 0xfffe
	s_cmp_lg_u32 s10, 0
	s_cselect_b32 s13, s22, s19
	s_cselect_b32 s12, s20, s18
	s_xor_b64 s[8:9], s[14:15], s[8:9]
	s_delay_alu instid0(SALU_CYCLE_1) | instskip(NEXT) | instid1(SALU_CYCLE_1)
	s_xor_b64 s[12:13], s[12:13], s[8:9]
	s_sub_nc_u64 s[8:9], s[12:13], s[8:9]
	s_load_b256 s[12:19], s[0:1], 0x0
	s_cbranch_execnz .LBB19_4
.LBB19_3:
	v_cvt_f32_u32_e32 v1, s6
	s_sub_co_i32 s9, 0, s6
	s_delay_alu instid0(VALU_DEP_1) | instskip(NEXT) | instid1(TRANS32_DEP_1)
	v_rcp_iflag_f32_e32 v1, v1
	v_mul_f32_e32 v1, 0x4f7ffffe, v1
	s_delay_alu instid0(VALU_DEP_1) | instskip(NEXT) | instid1(VALU_DEP_1)
	v_cvt_u32_f32_e32 v1, v1
	v_readfirstlane_b32 s8, v1
	s_mul_i32 s9, s9, s8
	s_delay_alu instid0(SALU_CYCLE_1) | instskip(NEXT) | instid1(SALU_CYCLE_1)
	s_mul_hi_u32 s9, s8, s9
	s_add_co_i32 s8, s8, s9
	s_delay_alu instid0(SALU_CYCLE_1) | instskip(NEXT) | instid1(SALU_CYCLE_1)
	s_mul_hi_u32 s8, s4, s8
	s_mul_i32 s9, s8, s6
	s_add_co_i32 s10, s8, 1
	s_sub_co_i32 s9, s4, s9
	s_delay_alu instid0(SALU_CYCLE_1)
	s_sub_co_i32 s11, s9, s6
	s_cmp_ge_u32 s9, s6
	s_wait_alu 0xfffe
	s_cselect_b32 s8, s10, s8
	s_cselect_b32 s9, s11, s9
	s_add_co_i32 s10, s8, 1
	s_cmp_ge_u32 s9, s6
	s_mov_b32 s9, 0
	s_wait_alu 0xfffe
	s_cselect_b32 s8, s10, s8
.LBB19_4:
	s_clause 0x3
	s_load_b128 s[36:39], s[0:1], 0x60
	s_load_b256 s[20:27], s[0:1], 0x28
	s_load_b64 s[10:11], s[0:1], 0x48
	s_load_b32 s42, s[0:1], 0x7c
	s_mul_u64 s[0:1], s[8:9], s[6:7]
	s_wait_kmcnt 0x0
	s_load_b32 s46, s[36:37], 0x0
	s_load_b32 s33, s[38:39], 0x0
	s_mul_u64 s[6:7], s[26:27], s[2:3]
	s_sub_nc_u64 s[0:1], s[4:5], s[0:1]
	s_mul_u64 s[26:27], s[8:9], s[20:21]
	s_mul_u64 s[2:3], s[10:11], s[2:3]
	;; [unrolled: 1-line block ×3, first 2 shown]
	s_add_nc_u64 s[0:1], s[18:19], s[26:27]
	s_wait_alu 0xfffe
	s_lshl_b64 s[38:39], s[6:7], 1
	s_lshl_b64 s[30:31], s[2:3], 1
	s_add_nc_u64 s[2:3], s[16:17], s[26:27]
	s_add_nc_u64 s[34:35], s[0:1], s[22:23]
	s_ashr_i32 s1, s29, 31
	s_mov_b32 s0, s29
	s_and_b32 s10, s42, 0xffff
	s_add_nc_u64 s[36:37], s[12:13], s[38:39]
	s_add_nc_u64 s[20:21], s[14:15], s[30:31]
	;; [unrolled: 1-line block ×3, first 2 shown]
	s_cmp_lg_u64 s[24:25], s[0:1]
	s_mov_b32 s0, -1
	s_cbranch_scc0 .LBB19_39
; %bb.5:
	v_lshrrev_b32_e32 v24, 5, v0
	s_mov_b32 s9, exec_lo
	s_delay_alu instid0(VALU_DEP_1)
	v_cmpx_gt_i32_e64 s28, v24
	s_cbranch_execz .LBB19_38
; %bb.6:
	s_add_nc_u64 s[0:1], s[22:23], s[26:27]
	v_and_b32_e32 v25, 31, v0
	v_mad_co_u64_u32 v[1:2], null, s24, v24, s[0:1]
	s_and_b32 s0, s29, 7
	s_wait_alu 0xfffe
	s_lshr_b32 s42, s10, 5
	s_cmp_eq_u32 s0, 0
	v_mul_lo_u32 v5, s29, v24
	s_cselect_b32 s1, -1, 0
	s_ashr_i32 s11, s29, 3
	v_dual_mov_b32 v3, v2 :: v_dual_mov_b32 v2, 0
	v_lshlrev_b32_e32 v34, 1, v25
	v_lshlrev_b32_e32 v9, 4, v25
	s_wait_alu 0xfffe
	v_cmp_gt_i32_e64 s0, s11, v25
	v_mad_co_u64_u32 v[6:7], null, s25, v24, v[3:4]
	v_lshlrev_b32_e32 v3, 3, v25
	v_add_co_u32 v26, s2, s36, v9
	s_delay_alu instid0(VALU_DEP_1) | instskip(NEXT) | instid1(VALU_DEP_3)
	v_add_co_ci_u32_e64 v27, null, s37, 0, s2
	v_add_co_u32 v7, vcc_lo, v1, v3
	s_delay_alu instid0(VALU_DEP_1) | instskip(SKIP_1) | instid1(VALU_DEP_3)
	v_add_co_ci_u32_e64 v8, null, 0, v6, vcc_lo
	v_add_co_u32 v30, s2, s20, v9
	v_add_co_u32 v3, vcc_lo, s16, v7
	s_wait_alu 0xfffd
	s_delay_alu instid0(VALU_DEP_3)
	v_add_co_ci_u32_e64 v4, null, s17, v8, vcc_lo
	v_add_co_u32 v28, vcc_lo, s16, v1
	s_wait_alu 0xfffd
	v_add_co_ci_u32_e64 v29, null, s17, v6, vcc_lo
	v_add_co_u32 v7, vcc_lo, s18, v7
	s_wait_alu 0xfffd
	;; [unrolled: 3-line block ×3, first 2 shown]
	v_add_co_ci_u32_e64 v31, null, s21, 0, s2
	s_wait_alu 0xfffd
	v_add_co_ci_u32_e64 v33, null, s19, v6, vcc_lo
	s_mov_b32 s43, 0
	s_mul_i32 s47, s29, s42
	s_mul_u64 s[44:45], s[24:25], s[42:43]
	s_xor_b32 s48, s1, -1
	s_mov_b32 s49, 0x43e00000
	s_branch .LBB19_9
.LBB19_7:                               ;   in Loop: Header=BB19_9 Depth=1
	s_or_b32 exec_lo, exec_lo, s51
.LBB19_8:                               ;   in Loop: Header=BB19_9 Depth=1
	s_delay_alu instid0(SALU_CYCLE_1)
	s_or_b32 exec_lo, exec_lo, s50
	v_add_co_u32 v3, vcc_lo, v3, s44
	v_add_nc_u32_e32 v24, s42, v24
	s_wait_alu 0xfffd
	v_add_co_ci_u32_e64 v4, null, s45, v4, vcc_lo
	v_add_co_u32 v28, vcc_lo, v28, s44
	s_wait_alu 0xfffd
	v_add_co_ci_u32_e64 v29, null, s45, v29, vcc_lo
	v_add_co_u32 v7, vcc_lo, v7, s44
	s_wait_alu 0xfffd
	v_add_co_ci_u32_e64 v8, null, s45, v8, vcc_lo
	v_cmp_le_i32_e32 vcc_lo, s28, v24
	v_add_co_u32 v32, s1, v32, s44
	v_add_nc_u32_e32 v5, s47, v5
	s_wait_alu 0xf1ff
	v_add_co_ci_u32_e64 v33, null, s45, v33, s1
	s_or_b32 s43, vcc_lo, s43
	s_wait_alu 0xfffe
	s_and_not1_b32 exec_lo, exec_lo, s43
	s_cbranch_execz .LBB19_38
.LBB19_9:                               ; =>This Loop Header: Depth=1
                                        ;     Child Loop BB19_14 Depth 2
                                        ;     Child Loop BB19_17 Depth 2
	;; [unrolled: 1-line block ×6, first 2 shown]
	v_mul_lo_u32 v9, v24, s29
	v_mad_co_u64_u32 v[11:12], null, s24, v24, 0
	v_ashrrev_i32_e32 v6, 31, v5
	s_delay_alu instid0(VALU_DEP_3) | instskip(NEXT) | instid1(VALU_DEP_1)
	v_ashrrev_i32_e32 v10, 31, v9
	v_lshlrev_b64_e32 v[14:15], 1, v[9:10]
	s_delay_alu instid0(VALU_DEP_4) | instskip(NEXT) | instid1(VALU_DEP_1)
	v_mov_b32_e32 v9, v12
	v_mad_co_u64_u32 v[12:13], null, s25, v24, v[9:10]
	s_delay_alu instid0(VALU_DEP_3) | instskip(SKIP_1) | instid1(VALU_DEP_4)
	v_add_co_u32 v17, vcc_lo, s36, v14
	s_wait_alu 0xfffd
	v_add_co_ci_u32_e64 v18, null, s37, v15, vcc_lo
	v_lshlrev_b64_e32 v[9:10], 1, v[5:6]
	s_delay_alu instid0(VALU_DEP_3) | instskip(NEXT) | instid1(VALU_DEP_1)
	v_and_b32_e32 v1, 15, v17
	v_cmp_ne_u64_e32 vcc_lo, 0, v[1:2]
	s_or_b32 s1, s48, vcc_lo
	s_wait_alu 0xfffe
	s_and_saveexec_b32 s2, s1
	s_wait_alu 0xfffe
	s_xor_b32 s50, exec_lo, s2
	s_cbranch_execz .LBB19_19
; %bb.10:                               ;   in Loop: Header=BB19_9 Depth=1
	v_sub_nc_u32_e32 v1, 0, v17
	s_mov_b32 s1, exec_lo
	s_delay_alu instid0(VALU_DEP_1) | instskip(NEXT) | instid1(VALU_DEP_1)
	v_bfe_u32 v1, v1, 1, 3
	v_min_i32_e32 v16, s29, v1
	s_delay_alu instid0(VALU_DEP_1)
	v_cmpx_lt_i32_e64 v25, v16
	s_cbranch_execz .LBB19_12
; %bb.11:                               ;   in Loop: Header=BB19_9 Depth=1
	v_add_co_u32 v17, vcc_lo, v17, v34
	s_wait_alu 0xfffd
	v_add_co_ci_u32_e64 v18, null, 0, v18, vcc_lo
	global_load_u16 v1, v[17:18], off
	s_wait_loadcnt 0x0
	v_lshlrev_b32_e32 v1, 16, v1
	s_wait_kmcnt 0x0
	s_delay_alu instid0(VALU_DEP_1) | instskip(SKIP_1) | instid1(VALU_DEP_2)
	v_div_scale_f32 v6, null, s46, s46, v1
	v_div_scale_f32 v18, vcc_lo, v1, s46, v1
	v_rcp_f32_e32 v13, v6
	s_delay_alu instid0(TRANS32_DEP_1) | instskip(NEXT) | instid1(VALU_DEP_1)
	v_fma_f32 v17, -v6, v13, 1.0
	v_fmac_f32_e32 v13, v17, v13
	s_delay_alu instid0(VALU_DEP_1) | instskip(NEXT) | instid1(VALU_DEP_1)
	v_mul_f32_e32 v17, v18, v13
	v_fma_f32 v19, -v6, v17, v18
	s_delay_alu instid0(VALU_DEP_1) | instskip(NEXT) | instid1(VALU_DEP_1)
	v_fmac_f32_e32 v17, v19, v13
	v_fma_f32 v6, -v6, v17, v18
	s_wait_alu 0xfffd
	s_delay_alu instid0(VALU_DEP_1) | instskip(SKIP_3) | instid1(VALU_DEP_3)
	v_div_fmas_f32 v6, v6, v13, v17
	v_add_co_u32 v13, vcc_lo, s40, v11
	s_wait_alu 0xfffd
	v_add_co_ci_u32_e64 v18, null, s41, v12, vcc_lo
	v_div_fixup_f32 v1, v6, s46, v1
	s_delay_alu instid0(VALU_DEP_1) | instskip(SKIP_2) | instid1(VALU_DEP_2)
	v_med3_num_f32 v6, v1, s49, 0xc3e00000
	v_cmp_nlg_f32_e64 vcc_lo, 0x7f800000, |v1|
	s_wait_alu 0xfffd
	v_cndmask_b32_e32 v1, v6, v1, vcc_lo
	v_mov_b32_e32 v6, v2
	v_add_co_u32 v17, vcc_lo, v13, v25
	s_wait_alu 0xfffd
	v_add_co_ci_u32_e64 v18, null, 0, v18, vcc_lo
	s_delay_alu instid0(VALU_DEP_3)
	v_cvt_pk_fp8_f32 v6, v1, v1
	global_store_b8 v[17:18], v6, off
.LBB19_12:                              ;   in Loop: Header=BB19_9 Depth=1
	s_wait_alu 0xfffe
	s_or_b32 exec_lo, exec_lo, s1
	v_sub_nc_u32_e32 v1, s29, v16
	v_ashrrev_i32_e32 v17, 31, v16
	s_mov_b32 s51, exec_lo
	s_delay_alu instid0(VALU_DEP_2) | instskip(NEXT) | instid1(VALU_DEP_2)
	v_ashrrev_i32_e32 v6, 31, v1
	v_lshlrev_b64_e32 v[18:19], 1, v[16:17]
	s_delay_alu instid0(VALU_DEP_2) | instskip(NEXT) | instid1(VALU_DEP_1)
	v_lshrrev_b32_e32 v6, 29, v6
	v_add_nc_u32_e32 v6, v1, v6
	s_delay_alu instid0(VALU_DEP_1) | instskip(NEXT) | instid1(VALU_DEP_1)
	v_ashrrev_i32_e32 v6, 3, v6
	v_cmpx_lt_i32_e64 v25, v6
	s_cbranch_execz .LBB19_15
; %bb.13:                               ;   in Loop: Header=BB19_9 Depth=1
	v_add_co_u32 v13, vcc_lo, v18, v9
	s_wait_alu 0xfffd
	v_add_co_ci_u32_e64 v23, null, v19, v10, vcc_lo
	v_add_co_u32 v20, vcc_lo, v3, v16
	s_wait_alu 0xfffd
	v_add_co_ci_u32_e64 v21, null, v4, v17, vcc_lo
	;; [unrolled: 3-line block ×3, first 2 shown]
	v_mov_b32_e32 v13, v25
	s_mov_b32 s52, 0
.LBB19_14:                              ;   Parent Loop BB19_9 Depth=1
                                        ; =>  This Inner Loop Header: Depth=2
	global_load_b128 v[35:38], v[22:23], off
	v_add_co_u32 v22, vcc_lo, 0x200, v22
	s_wait_alu 0xfffd
	v_add_co_ci_u32_e64 v23, null, 0, v23, vcc_lo
	v_dual_mov_b32 v39, 0 :: v_dual_mov_b32 v40, 0
	v_dual_mov_b32 v41, 0 :: v_dual_mov_b32 v42, 0
	v_dual_mov_b32 v43, 0 :: v_dual_mov_b32 v44, 0
	v_dual_mov_b32 v45, 0 :: v_dual_mov_b32 v46, 0
	s_wait_loadcnt 0x0
	v_lshlrev_b32_e32 v50, 16, v38
	v_and_b32_e32 v38, 0xffff0000, v38
	v_lshlrev_b32_e32 v48, 16, v36
	v_and_b32_e32 v36, 0xffff0000, v36
	s_wait_kmcnt 0x0
	s_delay_alu instid0(VALU_DEP_3) | instskip(NEXT) | instid1(VALU_DEP_2)
	v_div_scale_f32 v65, null, s46, s46, v38
	v_div_scale_f32 v57, null, s46, s46, v36
	s_delay_alu instid0(VALU_DEP_2) | instskip(NEXT) | instid1(VALU_DEP_1)
	v_rcp_f32_e32 v74, v65
	v_rcp_f32_e32 v70, v57
	s_delay_alu instid0(TRANS32_DEP_2) | instskip(SKIP_2) | instid1(TRANS32_DEP_1)
	v_fma_f32 v82, -v65, v74, 1.0
	v_lshlrev_b32_e32 v49, 16, v37
	v_and_b32_e32 v37, 0xffff0000, v37
	v_fma_f32 v78, -v57, v70, 1.0
	s_delay_alu instid0(VALU_DEP_4) | instskip(NEXT) | instid1(VALU_DEP_4)
	v_dual_fmac_f32 v74, v82, v74 :: v_dual_lshlrev_b32 v47, 16, v35
	v_div_scale_f32 v59, null, s46, s46, v49
	s_delay_alu instid0(VALU_DEP_4) | instskip(NEXT) | instid1(VALU_DEP_4)
	v_div_scale_f32 v61, null, s46, s46, v37
	v_fmac_f32_e32 v70, v78, v70
	s_delay_alu instid0(VALU_DEP_4) | instskip(NEXT) | instid1(VALU_DEP_3)
	v_div_scale_f32 v51, null, s46, s46, v47
	v_rcp_f32_e32 v72, v61
	v_rcp_f32_e32 v71, v59
	v_div_scale_f32 v52, vcc_lo, v47, s46, v47
	s_delay_alu instid0(VALU_DEP_2) | instskip(SKIP_1) | instid1(TRANS32_DEP_3)
	v_rcp_f32_e32 v67, v51
	v_div_scale_f32 v60, s5, v49, s46, v49
	v_fma_f32 v80, -v61, v72, 1.0
	v_and_b32_e32 v35, 0xffff0000, v35
	s_delay_alu instid0(TRANS32_DEP_2) | instskip(NEXT) | instid1(TRANS32_DEP_1)
	v_fma_f32 v79, -v59, v71, 1.0
	v_fma_f32 v75, -v51, v67, 1.0
	s_delay_alu instid0(VALU_DEP_4) | instskip(NEXT) | instid1(VALU_DEP_4)
	v_fmac_f32_e32 v72, v80, v72
	v_div_scale_f32 v53, null, s46, s46, v35
	s_delay_alu instid0(VALU_DEP_4) | instskip(NEXT) | instid1(VALU_DEP_4)
	v_fmac_f32_e32 v71, v79, v71
	v_fmac_f32_e32 v67, v75, v67
	v_div_scale_f32 v55, null, s46, s46, v48
	s_delay_alu instid0(VALU_DEP_4) | instskip(SKIP_1) | instid1(VALU_DEP_2)
	v_rcp_f32_e32 v68, v53
	v_div_scale_f32 v63, null, s46, s46, v50
	v_rcp_f32_e32 v69, v55
	v_div_scale_f32 v54, s2, v35, s46, v35
	s_delay_alu instid0(VALU_DEP_2) | instskip(SKIP_2) | instid1(TRANS32_DEP_3)
	v_rcp_f32_e32 v73, v63
	v_div_scale_f32 v56, s3, v48, s46, v48
	v_div_scale_f32 v64, s7, v50, s46, v50
	v_fma_f32 v76, -v53, v68, 1.0
	v_add_nc_u32_e32 v13, 32, v13
	s_delay_alu instid0(TRANS32_DEP_2) | instskip(NEXT) | instid1(VALU_DEP_3)
	v_fma_f32 v77, -v55, v69, 1.0
	v_fmac_f32_e32 v68, v76, v68
	s_delay_alu instid0(TRANS32_DEP_1) | instskip(NEXT) | instid1(VALU_DEP_3)
	v_fma_f32 v81, -v63, v73, 1.0
	v_fmac_f32_e32 v69, v77, v69
	v_div_scale_f32 v58, s4, v36, s46, v36
	s_delay_alu instid0(VALU_DEP_4) | instskip(SKIP_1) | instid1(VALU_DEP_3)
	v_dual_mul_f32 v75, v52, v67 :: v_dual_mul_f32 v76, v54, v68
	v_div_scale_f32 v62, s6, v37, s46, v37
	v_dual_mul_f32 v77, v56, v69 :: v_dual_mul_f32 v78, v58, v70
	s_delay_alu instid0(VALU_DEP_3) | instskip(NEXT) | instid1(VALU_DEP_4)
	v_fma_f32 v83, -v51, v75, v52
	v_fma_f32 v84, -v53, v76, v54
	s_delay_alu instid0(VALU_DEP_4) | instskip(NEXT) | instid1(VALU_DEP_4)
	v_mul_f32_e32 v80, v62, v72
	v_fma_f32 v85, -v55, v77, v56
	v_fmac_f32_e32 v73, v81, v73
	s_delay_alu instid0(VALU_DEP_4) | instskip(SKIP_3) | instid1(VALU_DEP_4)
	v_dual_fmac_f32 v75, v83, v67 :: v_dual_fmac_f32 v76, v84, v68
	v_fma_f32 v86, -v57, v78, v58
	v_fma_f32 v88, -v61, v80, v62
	v_fmac_f32_e32 v77, v85, v69
	v_fma_f32 v51, -v51, v75, v52
	s_delay_alu instid0(VALU_DEP_4)
	v_dual_mul_f32 v81, v64, v73 :: v_dual_fmac_f32 v78, v86, v70
	v_fma_f32 v52, -v53, v76, v54
	v_fmac_f32_e32 v80, v88, v72
	v_fma_f32 v53, -v55, v77, v56
	s_wait_alu 0xfffd
	v_div_fmas_f32 v51, v51, v67, v75
	s_mov_b32 vcc_lo, s2
	v_fma_f32 v54, -v57, v78, v58
	s_wait_alu 0xfffe
	v_div_fmas_f32 v52, v52, v68, v76
	s_mov_b32 vcc_lo, s3
	v_div_fixup_f32 v47, v51, s46, v47
	s_wait_alu 0xfffe
	v_div_fmas_f32 v53, v53, v69, v77
	s_mov_b32 vcc_lo, s4
	v_div_fixup_f32 v35, v52, s46, v35
	s_wait_alu 0xfffe
	v_div_fmas_f32 v51, v54, v70, v78
	v_div_scale_f32 v66, s8, v38, s46, v38
	v_mul_f32_e32 v79, v60, v71
	v_cmp_nlg_f32_e64 s3, 0x7f800000, |v35|
	s_delay_alu instid0(VALU_DEP_4)
	v_div_fixup_f32 v36, v51, s46, v36
	v_med3_num_f32 v51, v35, s49, 0xc3e00000
	v_mul_f32_e32 v82, v66, v74
	v_fma_f32 v87, -v59, v79, v60
	v_fma_f32 v89, -v63, v81, v64
	v_fma_f32 v56, -v61, v80, v62
	s_wait_alu 0xf1ff
	v_cndmask_b32_e64 v35, v51, v35, s3
	v_fma_f32 v90, -v65, v82, v66
	v_fmac_f32_e32 v79, v87, v71
	s_mov_b32 vcc_lo, s5
	v_div_fixup_f32 v48, v53, s46, v48
	v_cvt_pk_fp8_f32 v40, v35, v35
	v_dual_fmac_f32 v81, v89, v73 :: v_dual_fmac_f32 v82, v90, v74
	v_fma_f32 v55, -v59, v79, v60
	v_med3_num_f32 v53, v47, s49, 0xc3e00000
	v_cmp_nlg_f32_e64 s2, 0x7f800000, |v47|
	s_delay_alu instid0(VALU_DEP_4)
	v_fma_f32 v57, -v63, v81, v64
	v_fma_f32 v58, -v65, v82, v66
	s_wait_alu 0xfffe
	v_div_fmas_f32 v52, v55, v71, v79
	s_mov_b32 vcc_lo, s6
	v_cmp_nlg_f32_e64 s4, 0x7f800000, |v48|
	s_wait_alu 0xfffe
	v_div_fmas_f32 v54, v56, v72, v80
	s_mov_b32 vcc_lo, s7
	v_div_fixup_f32 v49, v52, s46, v49
	s_wait_alu 0xfffe
	v_div_fmas_f32 v55, v57, v73, v81
	s_mov_b32 vcc_lo, s8
	v_med3_num_f32 v52, v48, s49, 0xc3e00000
	s_wait_alu 0xfffe
	v_div_fmas_f32 v56, v58, v74, v82
	v_cndmask_b32_e64 v47, v53, v47, s2
	v_div_fixup_f32 v37, v54, s46, v37
	v_med3_num_f32 v53, v36, s49, 0xc3e00000
	v_cmp_nlg_f32_e64 vcc_lo, 0x7f800000, |v36|
	v_div_fixup_f32 v50, v55, s46, v50
	v_med3_num_f32 v51, v49, s49, 0xc3e00000
	v_cmp_nlg_f32_e64 s2, 0x7f800000, |v49|
	v_cndmask_b32_e64 v48, v52, v48, s4
	v_div_fixup_f32 v38, v56, s46, v38
	v_cvt_pk_fp8_f32 v39, v47, v47
	v_med3_num_f32 v47, v37, s49, 0xc3e00000
	v_cmp_nlg_f32_e64 s3, 0x7f800000, |v37|
	s_wait_alu 0xfffd
	v_cndmask_b32_e32 v36, v53, v36, vcc_lo
	v_med3_num_f32 v35, v50, s49, 0xc3e00000
	v_cmp_nlg_f32_e64 vcc_lo, 0x7f800000, |v50|
	s_wait_alu 0xf1ff
	v_cndmask_b32_e64 v49, v51, v49, s2
	v_cvt_pk_fp8_f32 v41, v48, v48
	v_med3_num_f32 v48, v38, s49, 0xc3e00000
	v_cmp_nlg_f32_e64 s2, 0x7f800000, |v38|
	v_cndmask_b32_e64 v37, v47, v37, s3
	s_wait_alu 0xfffd
	v_cndmask_b32_e32 v35, v35, v50, vcc_lo
	v_and_b32_e32 v39, 0xff, v39
	v_cvt_pk_fp8_f32 v42, v36, v36
	v_lshlrev_b32_e32 v36, 8, v40
	s_wait_alu 0xf1ff
	v_cndmask_b32_e64 v38, v48, v38, s2
	v_lshlrev_b32_e32 v40, 16, v41
	v_cvt_pk_fp8_f32 v44, v37, v37
	v_cvt_pk_fp8_f32 v45, v35, v35
	v_and_b32_e32 v35, 0xff00, v36
	v_cvt_pk_fp8_f32 v46, v38, v38
	v_perm_b32 v37, v42, v40, 0x4020c0c
	v_and_b32_e32 v38, 0xff, v44
	v_and_b32_e32 v40, 0xff, v45
	v_cvt_pk_fp8_f32 v43, v49, v49
	v_lshlrev_b32_e32 v41, 24, v46
	v_or3_b32 v35, v37, v35, v39
	v_lshlrev_b32_e32 v37, 8, v38
	v_lshlrev_b32_e32 v38, 16, v40
	v_and_b32_e32 v36, 0xff, v43
	v_cmp_ge_i32_e64 s1, v13, v6
	s_delay_alu instid0(VALU_DEP_3) | instskip(SKIP_1) | instid1(VALU_DEP_1)
	v_or_b32_e32 v38, v41, v38
	s_or_b32 s52, s1, s52
	v_or3_b32 v36, v38, v37, v36
	global_store_b64 v[20:21], v[35:36], off
	v_add_co_u32 v20, vcc_lo, 0x100, v20
	s_wait_alu 0xfffd
	v_add_co_ci_u32_e64 v21, null, 0, v21, vcc_lo
	s_and_not1_b32 exec_lo, exec_lo, s52
	s_cbranch_execnz .LBB19_14
.LBB19_15:                              ;   in Loop: Header=BB19_9 Depth=1
	s_or_b32 exec_lo, exec_lo, s51
	v_lshl_add_u32 v20, v6, 3, v25
	s_mov_b32 s2, exec_lo
	s_delay_alu instid0(VALU_DEP_1)
	v_cmpx_lt_i32_e64 v20, v1
	s_cbranch_execz .LBB19_18
; %bb.16:                               ;   in Loop: Header=BB19_9 Depth=1
	v_ashrrev_i32_e32 v21, 31, v20
	v_add_co_u32 v6, vcc_lo, v18, v9
	s_wait_alu 0xfffd
	v_add_co_ci_u32_e64 v13, null, v19, v10, vcc_lo
	s_delay_alu instid0(VALU_DEP_3) | instskip(SKIP_1) | instid1(VALU_DEP_1)
	v_lshlrev_b64_e32 v[22:23], 1, v[20:21]
	s_mov_b32 s3, 0
	v_add_co_u32 v6, vcc_lo, v6, v22
	s_wait_alu 0xfffd
	s_delay_alu instid0(VALU_DEP_2)
	v_add_co_ci_u32_e64 v13, null, v13, v23, vcc_lo
	v_add_co_u32 v18, vcc_lo, v16, v20
	s_wait_alu 0xfffd
	v_add_co_ci_u32_e64 v19, null, v17, v21, vcc_lo
	v_add_co_u32 v16, vcc_lo, s36, v6
	s_wait_alu 0xfffd
	;; [unrolled: 3-line block ×3, first 2 shown]
	v_add_co_ci_u32_e64 v19, null, v29, v19, vcc_lo
.LBB19_17:                              ;   Parent Loop BB19_9 Depth=1
                                        ; =>  This Inner Loop Header: Depth=2
	global_load_u16 v6, v[16:17], off
	v_add_co_u32 v16, vcc_lo, v16, 64
	s_wait_alu 0xfffd
	v_add_co_ci_u32_e64 v17, null, 0, v17, vcc_lo
	v_dual_mov_b32 v13, 0 :: v_dual_add_nc_u32 v20, 32, v20
	s_delay_alu instid0(VALU_DEP_1)
	v_cmp_ge_i32_e64 s1, v20, v1
	s_wait_alu 0xfffe
	s_or_b32 s3, s1, s3
	s_wait_loadcnt 0x0
	v_lshlrev_b32_e32 v6, 16, v6
	s_wait_kmcnt 0x0
	s_delay_alu instid0(VALU_DEP_1) | instskip(SKIP_1) | instid1(VALU_DEP_2)
	v_div_scale_f32 v21, null, s46, s46, v6
	v_div_scale_f32 v23, vcc_lo, v6, s46, v6
	v_rcp_f32_e32 v22, v21
	s_delay_alu instid0(TRANS32_DEP_1) | instskip(NEXT) | instid1(VALU_DEP_1)
	v_fma_f32 v35, -v21, v22, 1.0
	v_fmac_f32_e32 v22, v35, v22
	s_delay_alu instid0(VALU_DEP_1) | instskip(NEXT) | instid1(VALU_DEP_1)
	v_mul_f32_e32 v35, v23, v22
	v_fma_f32 v36, -v21, v35, v23
	s_delay_alu instid0(VALU_DEP_1) | instskip(NEXT) | instid1(VALU_DEP_1)
	v_fmac_f32_e32 v35, v36, v22
	v_fma_f32 v21, -v21, v35, v23
	s_wait_alu 0xfffd
	s_delay_alu instid0(VALU_DEP_1) | instskip(NEXT) | instid1(VALU_DEP_1)
	v_div_fmas_f32 v21, v21, v22, v35
	v_div_fixup_f32 v6, v21, s46, v6
	s_delay_alu instid0(VALU_DEP_1) | instskip(SKIP_2) | instid1(VALU_DEP_2)
	v_med3_num_f32 v21, v6, s49, 0xc3e00000
	v_cmp_nlg_f32_e64 vcc_lo, 0x7f800000, |v6|
	s_wait_alu 0xfffd
	v_cndmask_b32_e32 v6, v21, v6, vcc_lo
	s_delay_alu instid0(VALU_DEP_1)
	v_cvt_pk_fp8_f32 v13, v6, v6
	global_store_b8 v[18:19], v13, off
	v_add_co_u32 v18, vcc_lo, v18, 32
	s_wait_alu 0xfffd
	v_add_co_ci_u32_e64 v19, null, 0, v19, vcc_lo
	s_wait_alu 0xfffe
	s_and_not1_b32 exec_lo, exec_lo, s3
	s_cbranch_execnz .LBB19_17
.LBB19_18:                              ;   in Loop: Header=BB19_9 Depth=1
	s_wait_alu 0xfffe
	s_or_b32 exec_lo, exec_lo, s2
.LBB19_19:                              ;   in Loop: Header=BB19_9 Depth=1
	s_and_not1_saveexec_b32 s50, s50
	s_cbranch_execz .LBB19_24
; %bb.20:                               ;   in Loop: Header=BB19_9 Depth=1
	s_and_saveexec_b32 s51, s0
	s_cbranch_execz .LBB19_23
; %bb.21:                               ;   in Loop: Header=BB19_9 Depth=1
	v_add_co_u32 v16, vcc_lo, v26, v9
	s_wait_alu 0xfffd
	v_add_co_ci_u32_e64 v17, null, v27, v10, vcc_lo
	v_dual_mov_b32 v19, v4 :: v_dual_mov_b32 v18, v3
	v_mov_b32_e32 v1, v25
	s_mov_b32 s52, 0
.LBB19_22:                              ;   Parent Loop BB19_9 Depth=1
                                        ; =>  This Inner Loop Header: Depth=2
	global_load_b128 v[20:23], v[16:17], off
	v_add_co_u32 v16, vcc_lo, 0x200, v16
	s_wait_alu 0xfffd
	v_add_co_ci_u32_e64 v17, null, 0, v17, vcc_lo
	v_dual_mov_b32 v6, 0 :: v_dual_mov_b32 v13, 0
	v_dual_mov_b32 v35, 0 :: v_dual_mov_b32 v36, 0
	;; [unrolled: 1-line block ×4, first 2 shown]
	s_wait_loadcnt 0x0
	v_lshlrev_b32_e32 v44, 16, v23
	v_and_b32_e32 v23, 0xffff0000, v23
	v_lshlrev_b32_e32 v42, 16, v21
	v_and_b32_e32 v21, 0xffff0000, v21
	s_wait_kmcnt 0x0
	s_delay_alu instid0(VALU_DEP_3) | instskip(NEXT) | instid1(VALU_DEP_3)
	v_div_scale_f32 v59, null, s46, s46, v23
	v_div_scale_f32 v49, null, s46, s46, v42
	s_delay_alu instid0(VALU_DEP_3) | instskip(NEXT) | instid1(VALU_DEP_3)
	v_div_scale_f32 v51, null, s46, s46, v21
	v_rcp_f32_e32 v68, v59
	s_delay_alu instid0(VALU_DEP_2) | instskip(NEXT) | instid1(VALU_DEP_1)
	v_rcp_f32_e32 v63, v49
	v_rcp_f32_e32 v64, v51
	s_delay_alu instid0(TRANS32_DEP_3) | instskip(SKIP_1) | instid1(TRANS32_DEP_2)
	v_fma_f32 v76, -v59, v68, 1.0
	v_lshlrev_b32_e32 v43, 16, v22
	v_fma_f32 v71, -v49, v63, 1.0
	s_delay_alu instid0(TRANS32_DEP_1) | instskip(NEXT) | instid1(VALU_DEP_4)
	v_fma_f32 v72, -v51, v64, 1.0
	v_fmac_f32_e32 v68, v76, v68
	s_delay_alu instid0(VALU_DEP_4) | instskip(NEXT) | instid1(VALU_DEP_4)
	v_div_scale_f32 v53, null, s46, s46, v43
	v_fmac_f32_e32 v63, v71, v63
	v_div_scale_f32 v50, s3, v42, s46, v42
	s_delay_alu instid0(VALU_DEP_3) | instskip(SKIP_3) | instid1(VALU_DEP_2)
	v_rcp_f32_e32 v65, v53
	v_fmac_f32_e32 v64, v72, v64
	v_div_scale_f32 v52, s4, v21, s46, v21
	v_div_scale_f32 v54, s5, v43, s46, v43
	v_mul_f32_e32 v72, v52, v64
	s_delay_alu instid0(TRANS32_DEP_1) | instskip(SKIP_1) | instid1(VALU_DEP_3)
	v_fma_f32 v73, -v53, v65, 1.0
	v_and_b32_e32 v22, 0xffff0000, v22
	v_fma_f32 v80, -v51, v72, v52
	s_delay_alu instid0(VALU_DEP_3) | instskip(NEXT) | instid1(VALU_DEP_3)
	v_fmac_f32_e32 v65, v73, v65
	v_div_scale_f32 v55, null, s46, s46, v22
	v_div_scale_f32 v56, s6, v22, s46, v22
	s_delay_alu instid0(VALU_DEP_4) | instskip(NEXT) | instid1(VALU_DEP_3)
	v_fmac_f32_e32 v72, v80, v64
	v_rcp_f32_e32 v66, v55
	s_delay_alu instid0(TRANS32_DEP_1) | instskip(NEXT) | instid1(VALU_DEP_1)
	v_fma_f32 v74, -v55, v66, 1.0
	v_dual_fmac_f32 v66, v74, v66 :: v_dual_lshlrev_b32 v41, 16, v20
	s_delay_alu instid0(VALU_DEP_1) | instskip(SKIP_1) | instid1(VALU_DEP_3)
	v_div_scale_f32 v45, null, s46, s46, v41
	v_div_scale_f32 v46, vcc_lo, v41, s46, v41
	v_dual_mul_f32 v71, v50, v63 :: v_dual_mul_f32 v74, v56, v66
	s_delay_alu instid0(VALU_DEP_3) | instskip(NEXT) | instid1(VALU_DEP_1)
	v_rcp_f32_e32 v61, v45
	v_fma_f32 v79, -v49, v71, v50
	s_delay_alu instid0(VALU_DEP_2) | instskip(NEXT) | instid1(VALU_DEP_1)
	v_fma_f32 v82, -v55, v74, v56
	v_dual_fmac_f32 v71, v79, v63 :: v_dual_fmac_f32 v74, v82, v66
	s_delay_alu instid0(TRANS32_DEP_1) | instskip(NEXT) | instid1(VALU_DEP_1)
	v_fma_f32 v69, -v45, v61, 1.0
	v_dual_fmac_f32 v61, v69, v61 :: v_dual_and_b32 v20, 0xffff0000, v20
	s_delay_alu instid0(VALU_DEP_1) | instskip(SKIP_1) | instid1(VALU_DEP_3)
	v_div_scale_f32 v47, null, s46, s46, v20
	v_div_scale_f32 v48, s2, v20, s46, v20
	v_mul_f32_e32 v69, v46, v61
	s_delay_alu instid0(VALU_DEP_3) | instskip(SKIP_2) | instid1(VALU_DEP_3)
	v_rcp_f32_e32 v62, v47
	v_div_scale_f32 v57, null, s46, s46, v44
	v_div_scale_f32 v58, s7, v44, s46, v44
	v_fma_f32 v77, -v45, v69, v46
	s_delay_alu instid0(VALU_DEP_3) | instskip(NEXT) | instid1(TRANS32_DEP_2)
	v_rcp_f32_e32 v67, v57
	v_fma_f32 v70, -v47, v62, 1.0
	s_delay_alu instid0(VALU_DEP_1) | instskip(NEXT) | instid1(TRANS32_DEP_1)
	v_dual_fmac_f32 v62, v70, v62 :: v_dual_add_nc_u32 v1, 32, v1
	v_fma_f32 v75, -v57, v67, 1.0
	s_delay_alu instid0(VALU_DEP_2) | instskip(NEXT) | instid1(VALU_DEP_2)
	v_cmp_le_i32_e64 s1, s11, v1
	v_dual_mul_f32 v70, v48, v62 :: v_dual_fmac_f32 v67, v75, v67
	v_div_scale_f32 v60, s8, v23, s46, v23
	v_mul_f32_e32 v73, v54, v65
	s_delay_alu instid0(VALU_DEP_3) | instskip(SKIP_1) | instid1(VALU_DEP_4)
	v_fma_f32 v78, -v47, v70, v48
	v_fmac_f32_e32 v69, v77, v61
	v_dual_mul_f32 v75, v58, v67 :: v_dual_mul_f32 v76, v60, v68
	s_delay_alu instid0(VALU_DEP_4) | instskip(NEXT) | instid1(VALU_DEP_4)
	v_fma_f32 v81, -v53, v73, v54
	v_fmac_f32_e32 v70, v78, v62
	s_delay_alu instid0(VALU_DEP_4) | instskip(NEXT) | instid1(VALU_DEP_4)
	v_fma_f32 v45, -v45, v69, v46
	v_fma_f32 v83, -v57, v75, v58
	;; [unrolled: 1-line block ×3, first 2 shown]
	v_fmac_f32_e32 v73, v81, v65
	v_fma_f32 v46, -v47, v70, v48
	v_fma_f32 v47, -v49, v71, v50
	s_wait_alu 0xfffd
	v_div_fmas_f32 v45, v45, v61, v69
	s_mov_b32 vcc_lo, s2
	v_fma_f32 v48, -v51, v72, v52
	s_wait_alu 0xfffe
	v_div_fmas_f32 v46, v46, v62, v70
	s_mov_b32 vcc_lo, s3
	v_div_fixup_f32 v41, v45, s46, v41
	s_wait_alu 0xfffe
	v_div_fmas_f32 v47, v47, v63, v71
	v_fmac_f32_e32 v76, v84, v68
	v_fma_f32 v49, -v53, v73, v54
	s_mov_b32 vcc_lo, s4
	v_cmp_nlg_f32_e64 s2, 0x7f800000, |v41|
	v_div_fixup_f32 v42, v47, s46, v42
	v_med3_num_f32 v47, v41, s49, 0xc3e00000
	v_fma_f32 v50, -v55, v74, v56
	s_wait_alu 0xfffe
	v_div_fmas_f32 v45, v48, v64, v72
	s_mov_b32 vcc_lo, s5
	v_div_fixup_f32 v20, v46, s46, v20
	v_cndmask_b32_e64 v41, v47, v41, s2
	s_wait_alu 0xfffe
	v_div_fmas_f32 v46, v49, v65, v73
	s_mov_b32 vcc_lo, s6
	v_fma_f32 v52, -v59, v76, v60
	s_wait_alu 0xfffe
	v_div_fmas_f32 v48, v50, v66, v74
	v_cvt_pk_fp8_f32 v6, v41, v41
	v_fmac_f32_e32 v75, v83, v67
	s_mov_b32 vcc_lo, s7
	v_div_fixup_f32 v21, v45, s46, v21
	v_med3_num_f32 v45, v20, s49, 0xc3e00000
	v_and_b32_e32 v6, 0xff, v6
	v_fma_f32 v51, -v57, v75, v58
	v_cmp_nlg_f32_e64 s3, 0x7f800000, |v20|
	v_div_fixup_f32 v43, v46, s46, v43
	v_med3_num_f32 v46, v42, s49, 0xc3e00000
	v_cmp_nlg_f32_e64 s4, 0x7f800000, |v42|
	s_wait_alu 0xfffe
	v_div_fmas_f32 v49, v51, v67, v75
	s_mov_b32 vcc_lo, s8
	v_med3_num_f32 v47, v21, s49, 0xc3e00000
	s_wait_alu 0xfffe
	v_div_fmas_f32 v50, v52, v68, v76
	v_cmp_nlg_f32_e64 vcc_lo, 0x7f800000, |v21|
	s_wait_alu 0xf1ff
	v_cndmask_b32_e64 v20, v45, v20, s3
	v_div_fixup_f32 v44, v49, s46, v44
	v_div_fixup_f32 v22, v48, s46, v22
	v_med3_num_f32 v45, v43, s49, 0xc3e00000
	v_cmp_nlg_f32_e64 s2, 0x7f800000, |v43|
	v_cndmask_b32_e64 v42, v46, v42, s4
	v_div_fixup_f32 v23, v50, s46, v23
	v_cvt_pk_fp8_f32 v13, v20, v20
	v_med3_num_f32 v20, v44, s49, 0xc3e00000
	s_wait_alu 0xfffd
	v_cndmask_b32_e32 v21, v47, v21, vcc_lo
	v_cmp_nlg_f32_e64 vcc_lo, 0x7f800000, |v44|
	v_med3_num_f32 v41, v22, s49, 0xc3e00000
	v_cmp_nlg_f32_e64 s3, 0x7f800000, |v22|
	s_wait_alu 0xf1ff
	v_cndmask_b32_e64 v43, v45, v43, s2
	v_cvt_pk_fp8_f32 v35, v42, v42
	v_med3_num_f32 v42, v23, s49, 0xc3e00000
	v_cmp_nlg_f32_e64 s2, 0x7f800000, |v23|
	s_wait_alu 0xfffd
	v_cndmask_b32_e32 v20, v20, v44, vcc_lo
	v_cndmask_b32_e64 v22, v41, v22, s3
	v_cvt_pk_fp8_f32 v36, v21, v21
	v_lshlrev_b32_e32 v13, 8, v13
	s_wait_alu 0xf1ff
	v_cndmask_b32_e64 v21, v42, v23, s2
	v_lshlrev_b32_e32 v23, 16, v35
	v_cvt_pk_fp8_f32 v39, v20, v20
	v_cvt_pk_fp8_f32 v38, v22, v22
	v_and_b32_e32 v13, 0xff00, v13
	v_cvt_pk_fp8_f32 v40, v21, v21
	v_perm_b32 v20, v36, v23, 0x4020c0c
	v_and_b32_e32 v23, 0xff, v39
	v_cvt_pk_fp8_f32 v37, v43, v43
	v_and_b32_e32 v21, 0xff, v38
	v_lshlrev_b32_e32 v35, 24, v40
	v_or3_b32 v20, v20, v13, v6
	v_lshlrev_b32_e32 v13, 16, v23
	v_and_b32_e32 v22, 0xff, v37
	v_lshlrev_b32_e32 v6, 8, v21
	s_or_b32 s52, s1, s52
	s_delay_alu instid0(VALU_DEP_3) | instskip(NEXT) | instid1(VALU_DEP_1)
	v_or_b32_e32 v13, v35, v13
	v_or3_b32 v21, v13, v6, v22
	global_store_b64 v[18:19], v[20:21], off
	v_add_co_u32 v18, vcc_lo, 0x100, v18
	s_wait_alu 0xfffd
	v_add_co_ci_u32_e64 v19, null, 0, v19, vcc_lo
	s_and_not1_b32 exec_lo, exec_lo, s52
	s_cbranch_execnz .LBB19_22
.LBB19_23:                              ;   in Loop: Header=BB19_9 Depth=1
	s_or_b32 exec_lo, exec_lo, s51
.LBB19_24:                              ;   in Loop: Header=BB19_9 Depth=1
	s_delay_alu instid0(SALU_CYCLE_1) | instskip(SKIP_3) | instid1(VALU_DEP_2)
	s_or_b32 exec_lo, exec_lo, s50
	v_add_co_u32 v6, vcc_lo, s20, v14
	s_wait_alu 0xfffd
	v_add_co_ci_u32_e64 v14, null, s21, v15, vcc_lo
	v_and_b32_e32 v1, 15, v6
	s_delay_alu instid0(VALU_DEP_1)
	v_cmp_ne_u64_e32 vcc_lo, 0, v[1:2]
	s_or_b32 s1, s48, vcc_lo
	s_wait_alu 0xfffe
	s_and_saveexec_b32 s2, s1
	s_wait_alu 0xfffe
	s_xor_b32 s50, exec_lo, s2
	s_cbranch_execz .LBB19_34
; %bb.25:                               ;   in Loop: Header=BB19_9 Depth=1
	v_sub_nc_u32_e32 v1, 0, v6
	s_mov_b32 s1, exec_lo
	s_delay_alu instid0(VALU_DEP_1) | instskip(NEXT) | instid1(VALU_DEP_1)
	v_bfe_u32 v1, v1, 1, 3
	v_min_i32_e32 v13, s29, v1
	s_delay_alu instid0(VALU_DEP_1)
	v_cmpx_lt_i32_e64 v25, v13
	s_cbranch_execz .LBB19_27
; %bb.26:                               ;   in Loop: Header=BB19_9 Depth=1
	v_add_co_u32 v15, vcc_lo, v6, v34
	s_wait_alu 0xfffd
	v_add_co_ci_u32_e64 v16, null, 0, v14, vcc_lo
	global_load_u16 v1, v[15:16], off
	s_wait_loadcnt 0x0
	v_lshlrev_b32_e32 v1, 16, v1
	s_wait_kmcnt 0x0
	s_delay_alu instid0(VALU_DEP_1) | instskip(NEXT) | instid1(VALU_DEP_1)
	v_div_scale_f32 v6, null, s33, s33, v1
	v_rcp_f32_e32 v14, v6
	s_delay_alu instid0(TRANS32_DEP_1) | instskip(NEXT) | instid1(VALU_DEP_1)
	v_fma_f32 v15, -v6, v14, 1.0
	v_fmac_f32_e32 v14, v15, v14
	v_div_scale_f32 v16, vcc_lo, v1, s33, v1
	s_delay_alu instid0(VALU_DEP_1) | instskip(NEXT) | instid1(VALU_DEP_1)
	v_mul_f32_e32 v15, v16, v14
	v_fma_f32 v17, -v6, v15, v16
	s_delay_alu instid0(VALU_DEP_1) | instskip(NEXT) | instid1(VALU_DEP_1)
	v_fmac_f32_e32 v15, v17, v14
	v_fma_f32 v6, -v6, v15, v16
	s_wait_alu 0xfffd
	s_delay_alu instid0(VALU_DEP_1) | instskip(SKIP_3) | instid1(VALU_DEP_3)
	v_div_fmas_f32 v6, v6, v14, v15
	v_add_co_u32 v11, vcc_lo, s34, v11
	s_wait_alu 0xfffd
	v_add_co_ci_u32_e64 v12, null, s35, v12, vcc_lo
	v_div_fixup_f32 v1, v6, s33, v1
	s_delay_alu instid0(VALU_DEP_1) | instskip(SKIP_2) | instid1(VALU_DEP_2)
	v_med3_num_f32 v6, v1, s49, 0xc3e00000
	v_cmp_nlg_f32_e64 vcc_lo, 0x7f800000, |v1|
	s_wait_alu 0xfffd
	v_cndmask_b32_e32 v1, v6, v1, vcc_lo
	v_mov_b32_e32 v6, v2
	v_add_co_u32 v11, vcc_lo, v11, v25
	s_wait_alu 0xfffd
	v_add_co_ci_u32_e64 v12, null, 0, v12, vcc_lo
	s_delay_alu instid0(VALU_DEP_3)
	v_cvt_pk_fp8_f32 v6, v1, v1
	global_store_b8 v[11:12], v6, off
.LBB19_27:                              ;   in Loop: Header=BB19_9 Depth=1
	s_wait_alu 0xfffe
	s_or_b32 exec_lo, exec_lo, s1
	v_sub_nc_u32_e32 v1, s29, v13
	v_ashrrev_i32_e32 v14, 31, v13
	s_mov_b32 s51, exec_lo
	s_delay_alu instid0(VALU_DEP_2) | instskip(NEXT) | instid1(VALU_DEP_2)
	v_ashrrev_i32_e32 v6, 31, v1
	v_lshlrev_b64_e32 v[11:12], 1, v[13:14]
	s_delay_alu instid0(VALU_DEP_2) | instskip(NEXT) | instid1(VALU_DEP_1)
	v_lshrrev_b32_e32 v6, 29, v6
	v_add_nc_u32_e32 v6, v1, v6
	s_delay_alu instid0(VALU_DEP_1) | instskip(NEXT) | instid1(VALU_DEP_1)
	v_ashrrev_i32_e32 v6, 3, v6
	v_cmpx_lt_i32_e64 v25, v6
	s_cbranch_execz .LBB19_30
; %bb.28:                               ;   in Loop: Header=BB19_9 Depth=1
	v_add_co_u32 v17, vcc_lo, v11, v9
	s_wait_alu 0xfffd
	v_add_co_ci_u32_e64 v18, null, v12, v10, vcc_lo
	v_add_co_u32 v15, vcc_lo, v7, v13
	s_wait_alu 0xfffd
	v_add_co_ci_u32_e64 v16, null, v8, v14, vcc_lo
	;; [unrolled: 3-line block ×3, first 2 shown]
	v_mov_b32_e32 v19, v25
	s_mov_b32 s52, 0
.LBB19_29:                              ;   Parent Loop BB19_9 Depth=1
                                        ; =>  This Inner Loop Header: Depth=2
	global_load_b128 v[20:23], v[17:18], off
	v_add_co_u32 v17, vcc_lo, 0x200, v17
	s_wait_alu 0xfffd
	v_add_co_ci_u32_e64 v18, null, 0, v18, vcc_lo
	v_dual_mov_b32 v35, 0 :: v_dual_mov_b32 v36, 0
	v_dual_mov_b32 v37, 0 :: v_dual_mov_b32 v38, 0
	;; [unrolled: 1-line block ×4, first 2 shown]
	s_wait_loadcnt 0x0
	v_lshlrev_b32_e32 v45, 16, v22
	v_lshlrev_b32_e32 v46, 16, v23
	v_and_b32_e32 v23, 0xffff0000, v23
	s_wait_kmcnt 0x0
	s_delay_alu instid0(VALU_DEP_3) | instskip(NEXT) | instid1(VALU_DEP_3)
	v_div_scale_f32 v55, null, s33, s33, v45
	v_div_scale_f32 v59, null, s33, s33, v46
	s_delay_alu instid0(VALU_DEP_3) | instskip(NEXT) | instid1(VALU_DEP_3)
	v_div_scale_f32 v61, null, s33, s33, v23
	v_rcp_f32_e32 v67, v55
	s_delay_alu instid0(VALU_DEP_2) | instskip(NEXT) | instid1(VALU_DEP_1)
	v_rcp_f32_e32 v69, v59
	v_rcp_f32_e32 v70, v61
	s_delay_alu instid0(TRANS32_DEP_3) | instskip(SKIP_1) | instid1(TRANS32_DEP_2)
	v_fma_f32 v75, -v55, v67, 1.0
	v_lshlrev_b32_e32 v44, 16, v21
	v_fma_f32 v77, -v59, v69, 1.0
	s_delay_alu instid0(TRANS32_DEP_1) | instskip(NEXT) | instid1(VALU_DEP_4)
	v_fma_f32 v78, -v61, v70, 1.0
	v_fmac_f32_e32 v67, v75, v67
	s_delay_alu instid0(VALU_DEP_4) | instskip(SKIP_2) | instid1(VALU_DEP_3)
	v_div_scale_f32 v51, null, s33, s33, v44
	v_div_scale_f32 v52, s3, v44, s33, v44
	v_fmac_f32_e32 v69, v77, v69
	v_rcp_f32_e32 v65, v51
	v_div_scale_f32 v60, s7, v46, s33, v46
	v_fmac_f32_e32 v70, v78, v70
	v_div_scale_f32 v62, s8, v23, s33, v23
	s_delay_alu instid0(VALU_DEP_1) | instskip(NEXT) | instid1(TRANS32_DEP_1)
	v_mul_f32_e32 v78, v62, v70
	v_fma_f32 v73, -v51, v65, 1.0
	v_and_b32_e32 v22, 0xffff0000, v22
	s_delay_alu instid0(VALU_DEP_3) | instskip(NEXT) | instid1(VALU_DEP_3)
	v_fma_f32 v86, -v61, v78, v62
	v_fmac_f32_e32 v65, v73, v65
	s_delay_alu instid0(VALU_DEP_3) | instskip(SKIP_1) | instid1(VALU_DEP_4)
	v_div_scale_f32 v57, null, s33, s33, v22
	v_div_scale_f32 v58, s6, v22, s33, v22
	v_fmac_f32_e32 v78, v86, v70
	s_delay_alu instid0(VALU_DEP_3) | instskip(NEXT) | instid1(TRANS32_DEP_1)
	v_rcp_f32_e32 v68, v57
	v_fma_f32 v76, -v57, v68, 1.0
	s_delay_alu instid0(VALU_DEP_1) | instskip(NEXT) | instid1(VALU_DEP_1)
	v_dual_fmac_f32 v68, v76, v68 :: v_dual_and_b32 v21, 0xffff0000, v21
	v_div_scale_f32 v53, null, s33, s33, v21
	v_div_scale_f32 v54, s4, v21, s33, v21
	s_delay_alu instid0(VALU_DEP_3) | instskip(NEXT) | instid1(VALU_DEP_3)
	v_dual_mul_f32 v73, v52, v65 :: v_dual_mul_f32 v76, v58, v68
	v_rcp_f32_e32 v66, v53
	s_delay_alu instid0(VALU_DEP_1) | instskip(NEXT) | instid1(VALU_DEP_2)
	v_fma_f32 v81, -v51, v73, v52
	v_fma_f32 v84, -v57, v76, v58
	s_delay_alu instid0(VALU_DEP_1) | instskip(NEXT) | instid1(TRANS32_DEP_1)
	v_dual_fmac_f32 v73, v81, v65 :: v_dual_fmac_f32 v76, v84, v68
	v_fma_f32 v74, -v53, v66, 1.0
	s_delay_alu instid0(VALU_DEP_1) | instskip(NEXT) | instid1(VALU_DEP_1)
	v_dual_fmac_f32 v66, v74, v66 :: v_dual_lshlrev_b32 v43, 16, v20
	v_div_scale_f32 v47, null, s33, s33, v43
	v_div_scale_f32 v48, vcc_lo, v43, s33, v43
	s_delay_alu instid0(VALU_DEP_3) | instskip(NEXT) | instid1(VALU_DEP_3)
	v_mul_f32_e32 v74, v54, v66
	v_rcp_f32_e32 v63, v47
	s_delay_alu instid0(VALU_DEP_1) | instskip(NEXT) | instid1(VALU_DEP_1)
	v_fma_f32 v82, -v53, v74, v54
	v_dual_mul_f32 v77, v60, v69 :: v_dual_fmac_f32 v74, v82, v66
	s_delay_alu instid0(TRANS32_DEP_1) | instskip(SKIP_1) | instid1(VALU_DEP_3)
	v_fma_f32 v71, -v47, v63, 1.0
	v_and_b32_e32 v20, 0xffff0000, v20
	v_fma_f32 v85, -v59, v77, v60
	s_delay_alu instid0(VALU_DEP_3) | instskip(NEXT) | instid1(VALU_DEP_3)
	v_fmac_f32_e32 v63, v71, v63
	v_div_scale_f32 v49, null, s33, s33, v20
	v_div_scale_f32 v50, s2, v20, s33, v20
	s_delay_alu instid0(VALU_DEP_3) | instskip(NEXT) | instid1(VALU_DEP_3)
	v_mul_f32_e32 v71, v48, v63
	v_rcp_f32_e32 v64, v49
	v_fmac_f32_e32 v77, v85, v69
	s_delay_alu instid0(VALU_DEP_2) | instskip(NEXT) | instid1(TRANS32_DEP_1)
	v_fma_f32 v79, -v47, v71, v48
	v_fma_f32 v72, -v49, v64, 1.0
	s_delay_alu instid0(VALU_DEP_1) | instskip(NEXT) | instid1(VALU_DEP_1)
	v_dual_fmac_f32 v64, v72, v64 :: v_dual_add_nc_u32 v19, 32, v19
	v_cmp_ge_i32_e64 s1, v19, v6
	s_delay_alu instid0(VALU_DEP_2) | instskip(SKIP_4) | instid1(VALU_DEP_2)
	v_mul_f32_e32 v72, v50, v64
	v_div_scale_f32 v56, s5, v45, s33, v45
	s_or_b32 s52, s1, s52
	v_fma_f32 v80, -v49, v72, v50
	v_mul_f32_e32 v75, v56, v67
	v_dual_fmac_f32 v71, v79, v63 :: v_dual_fmac_f32 v72, v80, v64
	s_delay_alu instid0(VALU_DEP_2) | instskip(NEXT) | instid1(VALU_DEP_2)
	v_fma_f32 v83, -v55, v75, v56
	v_fma_f32 v47, -v47, v71, v48
	s_delay_alu instid0(VALU_DEP_3) | instskip(NEXT) | instid1(VALU_DEP_3)
	v_fma_f32 v48, -v49, v72, v50
	v_fmac_f32_e32 v75, v83, v67
	v_fma_f32 v49, -v51, v73, v52
	s_wait_alu 0xfffd
	v_div_fmas_f32 v47, v47, v63, v71
	s_mov_b32 vcc_lo, s2
	v_fma_f32 v50, -v53, v74, v54
	s_wait_alu 0xfffe
	v_div_fmas_f32 v48, v48, v64, v72
	s_mov_b32 vcc_lo, s3
	;; [unrolled: 4-line block ×3, first 2 shown]
	v_fma_f32 v52, -v57, v76, v58
	v_div_fixup_f32 v43, v47, s33, v43
	s_wait_alu 0xfffe
	v_div_fmas_f32 v47, v50, v66, v74
	s_mov_b32 vcc_lo, s5
	v_fma_f32 v53, -v59, v77, v60
	v_div_fixup_f32 v20, v48, s33, v20
	s_wait_alu 0xfffe
	v_div_fmas_f32 v48, v51, v67, v75
	s_mov_b32 vcc_lo, s6
	v_fma_f32 v54, -v61, v78, v62
	v_div_fixup_f32 v44, v49, s33, v44
	v_med3_num_f32 v49, v43, s49, 0xc3e00000
	v_cmp_nlg_f32_e64 s2, 0x7f800000, |v43|
	s_wait_alu 0xfffe
	v_div_fmas_f32 v50, v52, v68, v76
	s_mov_b32 vcc_lo, s7
	v_div_fixup_f32 v21, v47, s33, v21
	s_wait_alu 0xfffe
	v_div_fmas_f32 v51, v53, v69, v77
	s_mov_b32 vcc_lo, s8
	v_med3_num_f32 v47, v20, s49, 0xc3e00000
	v_cmp_nlg_f32_e64 s3, 0x7f800000, |v20|
	v_div_fixup_f32 v45, v48, s33, v45
	v_med3_num_f32 v48, v44, s49, 0xc3e00000
	v_cmp_nlg_f32_e64 s4, 0x7f800000, |v44|
	s_wait_alu 0xfffe
	v_div_fmas_f32 v52, v54, v70, v78
	v_cndmask_b32_e64 v43, v49, v43, s2
	v_div_fixup_f32 v22, v50, s33, v22
	s_wait_alu 0xf1ff
	v_cndmask_b32_e64 v20, v47, v20, s3
	v_med3_num_f32 v47, v45, s49, 0xc3e00000
	v_cmp_nlg_f32_e64 s2, 0x7f800000, |v45|
	v_cndmask_b32_e64 v44, v48, v44, s4
	v_div_fixup_f32 v23, v52, s33, v23
	v_cvt_pk_fp8_f32 v35, v43, v43
	v_med3_num_f32 v43, v22, s49, 0xc3e00000
	v_cmp_nlg_f32_e64 s3, 0x7f800000, |v22|
	s_wait_alu 0xf1ff
	v_cndmask_b32_e64 v45, v47, v45, s2
	v_cvt_pk_fp8_f32 v37, v44, v44
	v_med3_num_f32 v44, v23, s49, 0xc3e00000
	v_cmp_nlg_f32_e64 s2, 0x7f800000, |v23|
	v_cndmask_b32_e64 v22, v43, v22, s3
	v_med3_num_f32 v49, v21, s49, 0xc3e00000
	v_cmp_nlg_f32_e64 vcc_lo, 0x7f800000, |v21|
	v_div_fixup_f32 v46, v51, s33, v46
	s_wait_alu 0xf1ff
	v_cndmask_b32_e64 v23, v44, v23, s2
	v_cvt_pk_fp8_f32 v40, v22, v22
	v_cvt_pk_fp8_f32 v36, v20, v20
	v_and_b32_e32 v35, 0xff, v35
	v_med3_num_f32 v20, v46, s49, 0xc3e00000
	v_cvt_pk_fp8_f32 v42, v23, v23
	v_and_b32_e32 v23, 0xff, v40
	s_wait_alu 0xfffd
	v_cndmask_b32_e32 v21, v49, v21, vcc_lo
	v_cmp_nlg_f32_e64 vcc_lo, 0x7f800000, |v46|
	v_cvt_pk_fp8_f32 v39, v45, v45
	s_delay_alu instid0(VALU_DEP_3) | instskip(SKIP_4) | instid1(VALU_DEP_3)
	v_cvt_pk_fp8_f32 v38, v21, v21
	s_wait_alu 0xfffd
	v_dual_cndmask_b32 v20, v20, v46 :: v_dual_lshlrev_b32 v21, 8, v36
	v_lshlrev_b32_e32 v36, 16, v37
	v_lshlrev_b32_e32 v37, 24, v42
	v_cvt_pk_fp8_f32 v41, v20, v20
	s_delay_alu instid0(VALU_DEP_4) | instskip(NEXT) | instid1(VALU_DEP_4)
	v_and_b32_e32 v20, 0xff00, v21
	v_perm_b32 v22, v38, v36, 0x4020c0c
	v_and_b32_e32 v21, 0xff, v39
	s_delay_alu instid0(VALU_DEP_4) | instskip(NEXT) | instid1(VALU_DEP_3)
	v_and_b32_e32 v36, 0xff, v41
	v_or3_b32 v20, v22, v20, v35
	v_lshlrev_b32_e32 v22, 8, v23
	s_delay_alu instid0(VALU_DEP_3) | instskip(NEXT) | instid1(VALU_DEP_1)
	v_lshlrev_b32_e32 v23, 16, v36
	v_or_b32_e32 v23, v37, v23
	s_delay_alu instid0(VALU_DEP_1)
	v_or3_b32 v21, v23, v22, v21
	global_store_b64 v[15:16], v[20:21], off
	v_add_co_u32 v15, vcc_lo, 0x100, v15
	s_wait_alu 0xfffd
	v_add_co_ci_u32_e64 v16, null, 0, v16, vcc_lo
	s_and_not1_b32 exec_lo, exec_lo, s52
	s_cbranch_execnz .LBB19_29
.LBB19_30:                              ;   in Loop: Header=BB19_9 Depth=1
	s_or_b32 exec_lo, exec_lo, s51
	v_lshl_add_u32 v15, v6, 3, v25
	s_mov_b32 s2, exec_lo
	s_delay_alu instid0(VALU_DEP_1)
	v_cmpx_lt_i32_e64 v15, v1
	s_cbranch_execz .LBB19_33
; %bb.31:                               ;   in Loop: Header=BB19_9 Depth=1
	v_ashrrev_i32_e32 v16, 31, v15
	v_add_co_u32 v6, vcc_lo, v11, v9
	s_wait_alu 0xfffd
	v_add_co_ci_u32_e64 v9, null, v12, v10, vcc_lo
	s_delay_alu instid0(VALU_DEP_3) | instskip(SKIP_1) | instid1(VALU_DEP_1)
	v_lshlrev_b64_e32 v[17:18], 1, v[15:16]
	s_mov_b32 s3, 0
	v_add_co_u32 v6, vcc_lo, v6, v17
	s_wait_alu 0xfffd
	s_delay_alu instid0(VALU_DEP_2)
	v_add_co_ci_u32_e64 v10, null, v9, v18, vcc_lo
	v_add_co_u32 v11, vcc_lo, v13, v15
	s_wait_alu 0xfffd
	v_add_co_ci_u32_e64 v12, null, v14, v16, vcc_lo
	v_add_co_u32 v9, vcc_lo, s20, v6
	s_wait_alu 0xfffd
	;; [unrolled: 3-line block ×3, first 2 shown]
	v_add_co_ci_u32_e64 v12, null, v33, v12, vcc_lo
.LBB19_32:                              ;   Parent Loop BB19_9 Depth=1
                                        ; =>  This Inner Loop Header: Depth=2
	global_load_u16 v6, v[9:10], off
	v_mov_b32_e32 v13, 0
	v_add_co_u32 v9, vcc_lo, v9, 64
	s_wait_alu 0xfffd
	v_add_co_ci_u32_e64 v10, null, 0, v10, vcc_lo
	s_wait_loadcnt 0x0
	v_lshlrev_b32_e32 v6, 16, v6
	s_wait_kmcnt 0x0
	s_delay_alu instid0(VALU_DEP_1) | instskip(SKIP_1) | instid1(VALU_DEP_2)
	v_div_scale_f32 v14, null, s33, s33, v6
	v_div_scale_f32 v17, vcc_lo, v6, s33, v6
	v_rcp_f32_e32 v16, v14
	s_delay_alu instid0(TRANS32_DEP_1) | instskip(NEXT) | instid1(VALU_DEP_1)
	v_fma_f32 v18, -v14, v16, 1.0
	v_dual_fmac_f32 v16, v18, v16 :: v_dual_add_nc_u32 v15, 32, v15
	s_delay_alu instid0(VALU_DEP_1) | instskip(NEXT) | instid1(VALU_DEP_2)
	v_cmp_ge_i32_e64 s1, v15, v1
	v_mul_f32_e32 v18, v17, v16
	s_wait_alu 0xfffe
	s_or_b32 s3, s1, s3
	s_delay_alu instid0(VALU_DEP_1) | instskip(NEXT) | instid1(VALU_DEP_1)
	v_fma_f32 v19, -v14, v18, v17
	v_fmac_f32_e32 v18, v19, v16
	s_delay_alu instid0(VALU_DEP_1) | instskip(SKIP_1) | instid1(VALU_DEP_1)
	v_fma_f32 v14, -v14, v18, v17
	s_wait_alu 0xfffd
	v_div_fmas_f32 v14, v14, v16, v18
	s_delay_alu instid0(VALU_DEP_1) | instskip(NEXT) | instid1(VALU_DEP_1)
	v_div_fixup_f32 v6, v14, s33, v6
	v_med3_num_f32 v14, v6, s49, 0xc3e00000
	v_cmp_nlg_f32_e64 vcc_lo, 0x7f800000, |v6|
	s_wait_alu 0xfffd
	s_delay_alu instid0(VALU_DEP_2) | instskip(NEXT) | instid1(VALU_DEP_1)
	v_cndmask_b32_e32 v6, v14, v6, vcc_lo
	v_cvt_pk_fp8_f32 v13, v6, v6
	global_store_b8 v[11:12], v13, off
	v_add_co_u32 v11, vcc_lo, v11, 32
	s_wait_alu 0xfffd
	v_add_co_ci_u32_e64 v12, null, 0, v12, vcc_lo
	s_wait_alu 0xfffe
	s_and_not1_b32 exec_lo, exec_lo, s3
	s_cbranch_execnz .LBB19_32
.LBB19_33:                              ;   in Loop: Header=BB19_9 Depth=1
	s_wait_alu 0xfffe
	s_or_b32 exec_lo, exec_lo, s2
                                        ; implicit-def: $vgpr9_vgpr10
.LBB19_34:                              ;   in Loop: Header=BB19_9 Depth=1
	s_and_not1_saveexec_b32 s50, s50
	s_cbranch_execz .LBB19_8
; %bb.35:                               ;   in Loop: Header=BB19_9 Depth=1
	s_and_saveexec_b32 s51, s0
	s_cbranch_execz .LBB19_7
; %bb.36:                               ;   in Loop: Header=BB19_9 Depth=1
	v_add_co_u32 v9, vcc_lo, v30, v9
	s_wait_alu 0xfffd
	v_add_co_ci_u32_e64 v10, null, v31, v10, vcc_lo
	v_dual_mov_b32 v12, v8 :: v_dual_mov_b32 v11, v7
	v_mov_b32_e32 v1, v25
	s_mov_b32 s52, 0
.LBB19_37:                              ;   Parent Loop BB19_9 Depth=1
                                        ; =>  This Inner Loop Header: Depth=2
	global_load_b128 v[13:16], v[9:10], off
	v_add_co_u32 v9, vcc_lo, 0x200, v9
	s_wait_alu 0xfffd
	v_add_co_ci_u32_e64 v10, null, 0, v10, vcc_lo
	v_dual_mov_b32 v6, 0 :: v_dual_mov_b32 v17, 0
	v_dual_mov_b32 v18, 0 :: v_dual_mov_b32 v19, 0
	;; [unrolled: 1-line block ×4, first 2 shown]
	s_wait_loadcnt 0x0
	v_lshlrev_b32_e32 v38, 16, v16
	v_and_b32_e32 v16, 0xffff0000, v16
	v_lshlrev_b32_e32 v36, 16, v14
	v_and_b32_e32 v14, 0xffff0000, v14
	s_wait_kmcnt 0x0
	s_delay_alu instid0(VALU_DEP_3) | instskip(NEXT) | instid1(VALU_DEP_2)
	v_div_scale_f32 v53, null, s33, s33, v16
	v_div_scale_f32 v45, null, s33, s33, v14
	s_delay_alu instid0(VALU_DEP_2) | instskip(NEXT) | instid1(VALU_DEP_1)
	v_rcp_f32_e32 v62, v53
	v_rcp_f32_e32 v58, v45
	s_delay_alu instid0(TRANS32_DEP_2) | instskip(SKIP_2) | instid1(TRANS32_DEP_1)
	v_fma_f32 v70, -v53, v62, 1.0
	v_lshlrev_b32_e32 v37, 16, v15
	v_and_b32_e32 v15, 0xffff0000, v15
	v_fma_f32 v66, -v45, v58, 1.0
	s_delay_alu instid0(VALU_DEP_4) | instskip(NEXT) | instid1(VALU_DEP_4)
	v_dual_fmac_f32 v62, v70, v62 :: v_dual_lshlrev_b32 v35, 16, v13
	v_div_scale_f32 v47, null, s33, s33, v37
	s_delay_alu instid0(VALU_DEP_4) | instskip(NEXT) | instid1(VALU_DEP_4)
	v_div_scale_f32 v49, null, s33, s33, v15
	v_fmac_f32_e32 v58, v66, v58
	s_delay_alu instid0(VALU_DEP_4) | instskip(NEXT) | instid1(VALU_DEP_3)
	v_div_scale_f32 v39, null, s33, s33, v35
	v_rcp_f32_e32 v60, v49
	v_rcp_f32_e32 v59, v47
	v_div_scale_f32 v40, vcc_lo, v35, s33, v35
	s_delay_alu instid0(VALU_DEP_2) | instskip(SKIP_1) | instid1(TRANS32_DEP_3)
	v_rcp_f32_e32 v55, v39
	v_div_scale_f32 v48, s5, v37, s33, v37
	v_fma_f32 v68, -v49, v60, 1.0
	v_and_b32_e32 v13, 0xffff0000, v13
	s_delay_alu instid0(TRANS32_DEP_2) | instskip(NEXT) | instid1(TRANS32_DEP_1)
	v_fma_f32 v67, -v47, v59, 1.0
	v_fma_f32 v63, -v39, v55, 1.0
	s_delay_alu instid0(VALU_DEP_4) | instskip(NEXT) | instid1(VALU_DEP_4)
	v_fmac_f32_e32 v60, v68, v60
	v_div_scale_f32 v41, null, s33, s33, v13
	v_div_scale_f32 v42, s2, v13, s33, v13
	s_delay_alu instid0(VALU_DEP_4) | instskip(SKIP_1) | instid1(VALU_DEP_4)
	v_fmac_f32_e32 v55, v63, v55
	v_div_scale_f32 v43, null, s33, s33, v36
	v_rcp_f32_e32 v56, v41
	v_div_scale_f32 v44, s3, v36, s33, v36
	s_delay_alu instid0(VALU_DEP_2) | instskip(SKIP_3) | instid1(TRANS32_DEP_2)
	v_rcp_f32_e32 v57, v43
	v_fmac_f32_e32 v59, v67, v59
	v_div_scale_f32 v51, null, s33, s33, v38
	v_div_scale_f32 v52, s7, v38, s33, v38
	v_fma_f32 v64, -v41, v56, 1.0
	v_add_nc_u32_e32 v1, 32, v1
	s_delay_alu instid0(VALU_DEP_4) | instskip(NEXT) | instid1(TRANS32_DEP_2)
	v_rcp_f32_e32 v61, v51
	v_fma_f32 v65, -v43, v57, 1.0
	s_delay_alu instid0(VALU_DEP_3) | instskip(NEXT) | instid1(VALU_DEP_3)
	v_fmac_f32_e32 v56, v64, v56
	v_cmp_le_i32_e64 s1, s11, v1
	s_delay_alu instid0(VALU_DEP_3) | instskip(SKIP_1) | instid1(VALU_DEP_4)
	v_fmac_f32_e32 v57, v65, v57
	v_div_scale_f32 v46, s4, v14, s33, v14
	v_dual_mul_f32 v63, v40, v55 :: v_dual_mul_f32 v64, v42, v56
	v_div_scale_f32 v50, s6, v15, s33, v15
	s_delay_alu instid0(VALU_DEP_3) | instskip(NEXT) | instid1(VALU_DEP_3)
	v_dual_mul_f32 v65, v44, v57 :: v_dual_mul_f32 v66, v46, v58
	v_fma_f32 v71, -v39, v63, v40
	s_delay_alu instid0(VALU_DEP_4) | instskip(NEXT) | instid1(VALU_DEP_4)
	v_fma_f32 v72, -v41, v64, v42
	v_mul_f32_e32 v68, v50, v60
	s_delay_alu instid0(VALU_DEP_4) | instskip(SKIP_1) | instid1(VALU_DEP_4)
	v_fma_f32 v73, -v43, v65, v44
	v_fma_f32 v69, -v51, v61, 1.0
	v_dual_fmac_f32 v63, v71, v55 :: v_dual_fmac_f32 v64, v72, v56
	s_delay_alu instid0(VALU_DEP_4) | instskip(NEXT) | instid1(VALU_DEP_4)
	v_fma_f32 v76, -v49, v68, v50
	v_fmac_f32_e32 v65, v73, v57
	s_delay_alu instid0(VALU_DEP_4) | instskip(NEXT) | instid1(VALU_DEP_4)
	v_fmac_f32_e32 v61, v69, v61
	v_fma_f32 v39, -v39, v63, v40
	v_fma_f32 v40, -v41, v64, v42
	v_fmac_f32_e32 v68, v76, v60
	v_fma_f32 v41, -v43, v65, v44
	v_div_scale_f32 v54, s8, v16, s33, v16
	s_wait_alu 0xfffd
	v_div_fmas_f32 v39, v39, v55, v63
	s_mov_b32 vcc_lo, s2
	s_delay_alu instid0(VALU_DEP_2)
	v_dual_mul_f32 v67, v48, v59 :: v_dual_mul_f32 v70, v54, v62
	s_wait_alu 0xfffe
	v_div_fmas_f32 v40, v40, v56, v64
	s_mov_b32 vcc_lo, s3
	v_div_fixup_f32 v35, v39, s33, v35
	s_wait_alu 0xfffe
	v_div_fmas_f32 v41, v41, v57, v65
	v_fma_f32 v74, -v45, v66, v46
	v_mul_f32_e32 v69, v52, v61
	v_fma_f32 v75, -v47, v67, v48
	v_cmp_nlg_f32_e64 s2, 0x7f800000, |v35|
	v_div_fixup_f32 v36, v41, s33, v36
	v_med3_num_f32 v41, v35, s49, 0xc3e00000
	v_fmac_f32_e32 v66, v74, v58
	v_fma_f32 v77, -v51, v69, v52
	v_fma_f32 v78, -v53, v70, v54
	v_fmac_f32_e32 v67, v75, v59
	s_wait_alu 0xf1ff
	v_cndmask_b32_e64 v35, v41, v35, s2
	v_fma_f32 v42, -v45, v66, v46
	s_mov_b32 vcc_lo, s4
	v_fmac_f32_e32 v70, v78, v62
	v_fma_f32 v43, -v47, v67, v48
	v_cvt_pk_fp8_f32 v6, v35, v35
	v_fmac_f32_e32 v69, v77, v61
	v_fma_f32 v44, -v49, v68, v50
	s_wait_alu 0xfffe
	v_div_fmas_f32 v39, v42, v58, v66
	s_mov_b32 vcc_lo, s5
	v_div_fixup_f32 v13, v40, s33, v13
	v_and_b32_e32 v6, 0xff, v6
	v_fma_f32 v45, -v51, v69, v52
	s_wait_alu 0xfffe
	v_div_fmas_f32 v40, v43, v59, v67
	s_mov_b32 vcc_lo, s6
	v_fma_f32 v46, -v53, v70, v54
	s_wait_alu 0xfffe
	v_div_fmas_f32 v42, v44, v60, v68
	s_mov_b32 vcc_lo, s7
	v_div_fixup_f32 v14, v39, s33, v14
	v_med3_num_f32 v39, v13, s49, 0xc3e00000
	v_cmp_nlg_f32_e64 s3, 0x7f800000, |v13|
	s_wait_alu 0xfffe
	v_div_fmas_f32 v43, v45, v61, v69
	s_mov_b32 vcc_lo, s8
	v_div_fixup_f32 v37, v40, s33, v37
	v_med3_num_f32 v40, v36, s49, 0xc3e00000
	v_cmp_nlg_f32_e64 s4, 0x7f800000, |v36|
	s_wait_alu 0xfffe
	v_div_fmas_f32 v44, v46, v62, v70
	v_med3_num_f32 v41, v14, s49, 0xc3e00000
	v_cmp_nlg_f32_e64 vcc_lo, 0x7f800000, |v14|
	s_wait_alu 0xf1ff
	v_cndmask_b32_e64 v13, v39, v13, s3
	v_div_fixup_f32 v38, v43, s33, v38
	v_div_fixup_f32 v15, v42, s33, v15
	v_med3_num_f32 v39, v37, s49, 0xc3e00000
	v_cmp_nlg_f32_e64 s2, 0x7f800000, |v37|
	v_cndmask_b32_e64 v36, v40, v36, s4
	v_div_fixup_f32 v16, v44, s33, v16
	s_wait_alu 0xfffd
	v_cndmask_b32_e32 v14, v41, v14, vcc_lo
	v_cvt_pk_fp8_f32 v17, v13, v13
	v_med3_num_f32 v13, v38, s49, 0xc3e00000
	v_cmp_nlg_f32_e64 vcc_lo, 0x7f800000, |v38|
	v_med3_num_f32 v35, v15, s49, 0xc3e00000
	v_cmp_nlg_f32_e64 s3, 0x7f800000, |v15|
	s_wait_alu 0xf1ff
	v_cndmask_b32_e64 v37, v39, v37, s2
	v_cvt_pk_fp8_f32 v18, v36, v36
	v_med3_num_f32 v36, v16, s49, 0xc3e00000
	v_cmp_nlg_f32_e64 s2, 0x7f800000, |v16|
	s_wait_alu 0xfffd
	v_cndmask_b32_e32 v13, v13, v38, vcc_lo
	v_cndmask_b32_e64 v15, v35, v15, s3
	v_cvt_pk_fp8_f32 v19, v14, v14
	v_lshlrev_b32_e32 v14, 8, v17
	s_wait_alu 0xf1ff
	v_cndmask_b32_e64 v16, v36, v16, s2
	v_lshlrev_b32_e32 v17, 16, v18
	v_cvt_pk_fp8_f32 v22, v13, v13
	v_cvt_pk_fp8_f32 v21, v15, v15
	v_and_b32_e32 v13, 0xff00, v14
	v_cvt_pk_fp8_f32 v23, v16, v16
	v_perm_b32 v15, v19, v17, 0x4020c0c
	v_and_b32_e32 v17, 0xff, v22
	v_cvt_pk_fp8_f32 v20, v37, v37
	v_and_b32_e32 v16, 0xff, v21
	v_lshlrev_b32_e32 v18, 24, v23
	v_or3_b32 v13, v15, v13, v6
	v_lshlrev_b32_e32 v15, 16, v17
	v_and_b32_e32 v14, 0xff, v20
	v_lshlrev_b32_e32 v6, 8, v16
	s_or_b32 s52, s1, s52
	s_delay_alu instid0(VALU_DEP_3) | instskip(NEXT) | instid1(VALU_DEP_1)
	v_or_b32_e32 v15, v18, v15
	v_or3_b32 v14, v15, v6, v14
	global_store_b64 v[11:12], v[13:14], off
	v_add_co_u32 v11, vcc_lo, 0x100, v11
	s_wait_alu 0xfffd
	v_add_co_ci_u32_e64 v12, null, 0, v12, vcc_lo
	s_and_not1_b32 exec_lo, exec_lo, s52
	s_cbranch_execnz .LBB19_37
	s_branch .LBB19_7
.LBB19_38:
	s_or_b32 exec_lo, exec_lo, s9
	s_mov_b32 s0, 0
.LBB19_39:
	s_wait_alu 0xfffe
	s_and_not1_b32 vcc_lo, exec_lo, s0
	s_wait_alu 0xfffe
	s_cbranch_vccnz .LBB19_71
; %bb.40:
	s_and_b32 s0, s36, 15
	s_mov_b32 s1, 0
	s_mul_i32 s28, s29, s28
	s_wait_alu 0xfffe
	s_cmp_lg_u64 s[0:1], 0
	s_cselect_b32 s0, -1, 0
	s_and_b32 s1, s28, 7
	s_wait_alu 0xfffe
	s_cmp_eq_u32 s1, 0
	s_cselect_b32 s29, -1, 0
	s_cmp_lg_u32 s1, 0
	s_cselect_b32 s1, -1, 0
	s_wait_alu 0xfffe
	s_or_b32 s0, s0, s1
	s_wait_alu 0xfffe
	s_and_b32 vcc_lo, exec_lo, s0
	s_mov_b32 s0, -1
	s_wait_alu 0xfffe
	s_cbranch_vccz .LBB19_51
; %bb.41:
	s_sub_co_i32 s0, 0, s36
	s_mov_b32 s1, exec_lo
	s_wait_alu 0xfffe
	s_bfe_u32 s0, s0, 0x30001
	s_wait_alu 0xfffe
	s_min_i32 s8, s0, s28
	s_delay_alu instid0(SALU_CYCLE_1)
	v_cmpx_gt_i32_e64 s8, v0
	s_cbranch_execz .LBB19_44
; %bb.42:
	v_dual_mov_b32 v1, 0 :: v_dual_lshlrev_b32 v2, 1, v0
	s_mov_b32 s2, 0
	s_lshl_b32 s3, s10, 1
	s_mov_b32 s4, 0x43e00000
	s_delay_alu instid0(VALU_DEP_1)
	v_add_co_u32 v2, s0, s36, v2
	s_wait_alu 0xf1ff
	v_add_co_ci_u32_e64 v3, null, s37, 0, s0
	v_dual_mov_b32 v5, v1 :: v_dual_mov_b32 v4, v0
.LBB19_43:                              ; =>This Inner Loop Header: Depth=1
	global_load_u16 v1, v[2:3], off
	s_wait_loadcnt 0x0
	v_lshlrev_b32_e32 v1, 16, v1
	s_wait_kmcnt 0x0
	s_delay_alu instid0(VALU_DEP_1) | instskip(SKIP_1) | instid1(VALU_DEP_2)
	v_div_scale_f32 v6, null, s46, s46, v1
	v_div_scale_f32 v9, vcc_lo, v1, s46, v1
	v_rcp_f32_e32 v7, v6
	s_delay_alu instid0(TRANS32_DEP_1) | instskip(NEXT) | instid1(VALU_DEP_1)
	v_fma_f32 v8, -v6, v7, 1.0
	v_fmac_f32_e32 v7, v8, v7
	s_delay_alu instid0(VALU_DEP_1) | instskip(NEXT) | instid1(VALU_DEP_1)
	v_mul_f32_e32 v8, v9, v7
	v_fma_f32 v10, -v6, v8, v9
	s_delay_alu instid0(VALU_DEP_1) | instskip(NEXT) | instid1(VALU_DEP_1)
	v_fmac_f32_e32 v8, v10, v7
	v_fma_f32 v6, -v6, v8, v9
	s_wait_alu 0xfffd
	s_delay_alu instid0(VALU_DEP_1) | instskip(SKIP_3) | instid1(VALU_DEP_3)
	v_div_fmas_f32 v8, v6, v7, v8
	v_add_co_u32 v6, vcc_lo, s40, v4
	s_wait_alu 0xfffd
	v_add_co_ci_u32_e64 v7, null, s41, v5, vcc_lo
	v_div_fixup_f32 v1, v8, s46, v1
	v_add_co_u32 v4, vcc_lo, v4, s10
	s_wait_alu 0xfffd
	v_add_co_ci_u32_e64 v5, null, 0, v5, vcc_lo
	s_wait_alu 0xfffe
	v_med3_num_f32 v9, v1, s4, 0xc3e00000
	v_cmp_nlg_f32_e64 vcc_lo, 0x7f800000, |v1|
	v_mov_b32_e32 v8, 0
	v_cmp_le_i32_e64 s0, s8, v4
	s_wait_alu 0xfffd
	v_cndmask_b32_e32 v1, v9, v1, vcc_lo
	v_add_co_u32 v2, vcc_lo, v2, s3
	s_wait_alu 0xfffd
	v_add_co_ci_u32_e64 v3, null, 0, v3, vcc_lo
	s_delay_alu instid0(VALU_DEP_3)
	v_cvt_pk_fp8_f32 v8, v1, v1
	s_or_b32 s2, s0, s2
	global_store_b8 v[6:7], v8, off
	s_wait_alu 0xfffe
	s_and_not1_b32 exec_lo, exec_lo, s2
	s_cbranch_execnz .LBB19_43
.LBB19_44:
	s_or_b32 exec_lo, exec_lo, s1
	s_sub_co_i32 s40, s28, s8
	s_ashr_i32 s9, s8, 31
	s_wait_alu 0xfffe
	s_ashr_i32 s0, s40, 31
	s_mov_b32 s41, exec_lo
	s_wait_alu 0xfffe
	s_lshr_b32 s0, s0, 29
	s_wait_alu 0xfffe
	s_add_co_i32 s0, s40, s0
	s_wait_alu 0xfffe
	s_ashr_i32 s11, s0, 3
	s_add_nc_u64 s[0:1], s[8:9], s[26:27]
	s_wait_alu 0xfffe
	s_add_nc_u64 s[24:25], s[0:1], s[22:23]
	v_cmpx_gt_i32_e64 s11, v0
	s_cbranch_execz .LBB19_47
; %bb.45:
	v_lshlrev_b32_e32 v1, 3, v0
	s_wait_alu 0xfffe
	s_add_nc_u64 s[0:1], s[16:17], s[24:25]
	s_lshl_b64 s[2:3], s[8:9], 1
	v_lshlrev_b32_e32 v3, 4, v0
	s_wait_alu 0xfffe
	s_add_nc_u64 s[2:3], s[12:13], s[2:3]
	v_add_co_u32 v1, s0, s0, v1
	s_wait_alu 0xf1ff
	v_add_co_ci_u32_e64 v2, null, s1, 0, s0
	s_wait_alu 0xfffe
	s_add_nc_u64 s[0:1], s[2:3], s[38:39]
	v_mov_b32_e32 v5, v0
	s_wait_alu 0xfffe
	v_add_co_u32 v3, s0, s0, v3
	s_wait_alu 0xf1ff
	v_add_co_ci_u32_e64 v4, null, s1, 0, s0
	s_mov_b32 s42, 0
	s_lshl_b32 s43, s10, 3
	s_lshl_b32 s44, s10, 4
	s_mov_b32 s45, 0x43e00000
.LBB19_46:                              ; =>This Inner Loop Header: Depth=1
	global_load_b128 v[6:9], v[3:4], off
	s_wait_alu 0xfffe
	v_add_co_u32 v3, vcc_lo, v3, s44
	s_wait_alu 0xfffd
	v_add_co_ci_u32_e64 v4, null, 0, v4, vcc_lo
	v_dual_mov_b32 v10, 0 :: v_dual_mov_b32 v11, 0
	v_dual_mov_b32 v12, 0 :: v_dual_mov_b32 v13, 0
	;; [unrolled: 1-line block ×4, first 2 shown]
	s_wait_loadcnt 0x0
	v_lshlrev_b32_e32 v21, 16, v9
	v_and_b32_e32 v9, 0xffff0000, v9
	v_lshlrev_b32_e32 v20, 16, v8
	v_lshlrev_b32_e32 v19, 16, v7
	;; [unrolled: 1-line block ×3, first 2 shown]
	s_wait_kmcnt 0x0
	v_div_scale_f32 v34, null, s46, s46, v21
	v_div_scale_f32 v36, null, s46, s46, v9
	;; [unrolled: 1-line block ×3, first 2 shown]
	s_delay_alu instid0(VALU_DEP_3) | instskip(NEXT) | instid1(VALU_DEP_2)
	v_rcp_f32_e32 v44, v34
	v_rcp_f32_e32 v45, v36
	s_delay_alu instid0(VALU_DEP_1) | instskip(NEXT) | instid1(TRANS32_DEP_3)
	v_rcp_f32_e32 v40, v26
	v_fma_f32 v52, -v34, v44, 1.0
	s_delay_alu instid0(TRANS32_DEP_2) | instskip(SKIP_1) | instid1(TRANS32_DEP_1)
	v_fma_f32 v53, -v36, v45, 1.0
	v_and_b32_e32 v8, 0xffff0000, v8
	v_fma_f32 v48, -v26, v40, 1.0
	s_delay_alu instid0(VALU_DEP_3) | instskip(NEXT) | instid1(VALU_DEP_3)
	v_dual_fmac_f32 v44, v52, v44 :: v_dual_fmac_f32 v45, v53, v45
	v_div_scale_f32 v32, null, s46, s46, v8
	s_delay_alu instid0(VALU_DEP_3) | instskip(SKIP_1) | instid1(VALU_DEP_3)
	v_fmac_f32_e32 v40, v48, v40
	v_div_scale_f32 v27, s2, v19, s46, v19
	v_rcp_f32_e32 v43, v32
	v_div_scale_f32 v33, s5, v8, s46, v8
	v_div_scale_f32 v35, s6, v21, s46, v21
	s_delay_alu instid0(VALU_DEP_3) | instskip(NEXT) | instid1(VALU_DEP_2)
	v_mul_f32_e32 v48, v27, v40
	v_mul_f32_e32 v52, v35, v44
	s_delay_alu instid0(TRANS32_DEP_1) | instskip(NEXT) | instid1(VALU_DEP_3)
	v_fma_f32 v51, -v32, v43, 1.0
	v_fma_f32 v56, -v26, v48, v27
	s_delay_alu instid0(VALU_DEP_3) | instskip(NEXT) | instid1(VALU_DEP_3)
	v_fma_f32 v60, -v34, v52, v35
	v_fmac_f32_e32 v43, v51, v43
	v_div_scale_f32 v30, null, s46, s46, v20
	v_div_scale_f32 v31, s4, v20, s46, v20
	s_delay_alu instid0(VALU_DEP_3) | instskip(NEXT) | instid1(VALU_DEP_3)
	v_mul_f32_e32 v51, v33, v43
	v_rcp_f32_e32 v42, v30
	v_fmac_f32_e32 v52, v60, v44
	v_fmac_f32_e32 v48, v56, v40
	s_delay_alu instid0(VALU_DEP_3) | instskip(NEXT) | instid1(VALU_DEP_1)
	v_fma_f32 v59, -v32, v51, v33
	v_fmac_f32_e32 v51, v59, v43
	s_delay_alu instid0(TRANS32_DEP_1) | instskip(NEXT) | instid1(VALU_DEP_1)
	v_fma_f32 v50, -v30, v42, 1.0
	v_dual_fmac_f32 v42, v50, v42 :: v_dual_and_b32 v7, 0xffff0000, v7
	s_delay_alu instid0(VALU_DEP_1) | instskip(SKIP_1) | instid1(VALU_DEP_3)
	v_div_scale_f32 v28, null, s46, s46, v7
	v_div_scale_f32 v29, s3, v7, s46, v7
	v_mul_f32_e32 v50, v31, v42
	s_delay_alu instid0(VALU_DEP_3) | instskip(NEXT) | instid1(VALU_DEP_1)
	v_rcp_f32_e32 v41, v28
	v_fma_f32 v58, -v30, v50, v31
	s_delay_alu instid0(VALU_DEP_1) | instskip(NEXT) | instid1(TRANS32_DEP_1)
	v_fmac_f32_e32 v50, v58, v42
	v_fma_f32 v49, -v28, v41, 1.0
	s_delay_alu instid0(VALU_DEP_1) | instskip(NEXT) | instid1(VALU_DEP_1)
	v_dual_fmac_f32 v41, v49, v41 :: v_dual_and_b32 v6, 0xffff0000, v6
	v_div_scale_f32 v24, null, s46, s46, v6
	v_div_scale_f32 v25, s1, v6, s46, v6
	s_delay_alu instid0(VALU_DEP_3) | instskip(NEXT) | instid1(VALU_DEP_3)
	v_mul_f32_e32 v49, v29, v41
	v_rcp_f32_e32 v39, v24
	s_delay_alu instid0(VALU_DEP_1) | instskip(NEXT) | instid1(VALU_DEP_1)
	v_fma_f32 v57, -v28, v49, v29
	v_fmac_f32_e32 v49, v57, v41
	s_delay_alu instid0(TRANS32_DEP_1) | instskip(NEXT) | instid1(VALU_DEP_1)
	v_fma_f32 v47, -v24, v39, 1.0
	v_fmac_f32_e32 v39, v47, v39
	v_div_scale_f32 v22, null, s46, s46, v18
	v_div_scale_f32 v23, vcc_lo, v18, s46, v18
	s_delay_alu instid0(VALU_DEP_3) | instskip(NEXT) | instid1(VALU_DEP_3)
	v_mul_f32_e32 v47, v25, v39
	v_rcp_f32_e32 v38, v22
	s_delay_alu instid0(VALU_DEP_1) | instskip(NEXT) | instid1(VALU_DEP_1)
	v_fma_f32 v55, -v24, v47, v25
	v_fmac_f32_e32 v47, v55, v39
	s_delay_alu instid0(TRANS32_DEP_1) | instskip(NEXT) | instid1(VALU_DEP_1)
	v_fma_f32 v46, -v22, v38, 1.0
	v_dual_fmac_f32 v38, v46, v38 :: v_dual_add_nc_u32 v5, s10, v5
	s_delay_alu instid0(VALU_DEP_1) | instskip(NEXT) | instid1(VALU_DEP_2)
	v_cmp_le_i32_e64 s0, s11, v5
	v_mul_f32_e32 v46, v23, v38
	v_div_scale_f32 v37, s7, v9, s46, v9
	s_or_b32 s42, s0, s42
	v_fma_f32 v54, -v22, v46, v23
	s_delay_alu instid0(VALU_DEP_1) | instskip(NEXT) | instid1(VALU_DEP_1)
	v_dual_mul_f32 v53, v37, v45 :: v_dual_fmac_f32 v46, v54, v38
	v_fma_f32 v61, -v36, v53, v37
	s_delay_alu instid0(VALU_DEP_2)
	v_fma_f32 v22, -v22, v46, v23
	v_fma_f32 v23, -v24, v47, v25
	;; [unrolled: 1-line block ×5, first 2 shown]
	s_wait_alu 0xfffd
	v_div_fmas_f32 v22, v22, v38, v46
	s_mov_b32 vcc_lo, s1
	v_fma_f32 v27, -v32, v51, v33
	s_wait_alu 0xfffe
	v_div_fmas_f32 v23, v23, v39, v47
	s_mov_b32 vcc_lo, s2
	v_div_fixup_f32 v18, v22, s46, v18
	s_wait_alu 0xfffe
	v_div_fmas_f32 v24, v24, v40, v48
	s_mov_b32 vcc_lo, s3
	v_fma_f32 v28, -v34, v52, v35
	s_wait_alu 0xfffe
	v_div_fmas_f32 v22, v25, v41, v49
	v_cmp_nlg_f32_e64 s1, 0x7f800000, |v18|
	v_div_fixup_f32 v19, v24, s46, v19
	v_med3_num_f32 v24, v18, s45, 0xc3e00000
	s_mov_b32 vcc_lo, s4
	v_div_fixup_f32 v6, v23, s46, v6
	s_wait_alu 0xfffe
	v_div_fmas_f32 v23, v26, v42, v50
	s_mov_b32 vcc_lo, s5
	v_cndmask_b32_e64 v18, v24, v18, s1
	s_wait_alu 0xfffe
	v_div_fmas_f32 v25, v27, v43, v51
	s_mov_b32 vcc_lo, s6
	v_div_fixup_f32 v7, v22, s46, v7
	v_med3_num_f32 v22, v6, s45, 0xc3e00000
	v_cvt_pk_fp8_f32 v10, v18, v18
	v_fmac_f32_e32 v53, v61, v45
	v_cmp_nlg_f32_e64 s2, 0x7f800000, |v6|
	s_wait_alu 0xfffe
	v_div_fmas_f32 v26, v28, v44, v52
	s_mov_b32 vcc_lo, s7
	v_and_b32_e32 v10, 0xff, v10
	v_fma_f32 v29, -v36, v53, v37
	v_div_fixup_f32 v20, v23, s46, v20
	v_med3_num_f32 v23, v19, s45, 0xc3e00000
	v_cmp_nlg_f32_e64 s3, 0x7f800000, |v19|
	v_div_fixup_f32 v8, v25, s46, v8
	s_wait_alu 0xfffe
	v_div_fmas_f32 v27, v29, v45, v53
	v_med3_num_f32 v24, v7, s45, 0xc3e00000
	v_cmp_nlg_f32_e64 vcc_lo, 0x7f800000, |v7|
	v_cndmask_b32_e64 v6, v22, v6, s2
	v_div_fixup_f32 v21, v26, s46, v21
	v_med3_num_f32 v22, v20, s45, 0xc3e00000
	v_cmp_nlg_f32_e64 s1, 0x7f800000, |v20|
	s_wait_alu 0xf1ff
	v_cndmask_b32_e64 v19, v23, v19, s3
	v_div_fixup_f32 v9, v27, s46, v9
	v_med3_num_f32 v18, v8, s45, 0xc3e00000
	v_cmp_nlg_f32_e64 s2, 0x7f800000, |v8|
	v_cvt_pk_fp8_f32 v11, v6, v6
	v_med3_num_f32 v6, v21, s45, 0xc3e00000
	s_wait_alu 0xfffd
	v_cndmask_b32_e32 v7, v24, v7, vcc_lo
	v_cmp_nlg_f32_e64 vcc_lo, 0x7f800000, |v21|
	v_cndmask_b32_e64 v20, v22, v20, s1
	v_cvt_pk_fp8_f32 v12, v19, v19
	v_med3_num_f32 v19, v9, s45, 0xc3e00000
	v_cmp_nlg_f32_e64 s1, 0x7f800000, |v9|
	s_wait_alu 0xf1ff
	v_cndmask_b32_e64 v8, v18, v8, s2
	s_wait_alu 0xfffd
	v_cndmask_b32_e32 v6, v6, v21, vcc_lo
	v_cvt_pk_fp8_f32 v13, v7, v7
	v_lshlrev_b32_e32 v7, 8, v11
	v_cndmask_b32_e64 v9, v19, v9, s1
	v_lshlrev_b32_e32 v11, 16, v12
	v_cvt_pk_fp8_f32 v15, v8, v8
	v_cvt_pk_fp8_f32 v16, v6, v6
	v_and_b32_e32 v6, 0xff00, v7
	v_cvt_pk_fp8_f32 v17, v9, v9
	v_perm_b32 v8, v13, v11, 0x4020c0c
	v_and_b32_e32 v9, 0xff, v15
	v_and_b32_e32 v11, 0xff, v16
	v_cvt_pk_fp8_f32 v14, v20, v20
	v_lshlrev_b32_e32 v12, 24, v17
	v_or3_b32 v6, v8, v6, v10
	v_lshlrev_b32_e32 v8, 8, v9
	v_lshlrev_b32_e32 v9, 16, v11
	v_and_b32_e32 v7, 0xff, v14
	s_delay_alu instid0(VALU_DEP_2) | instskip(NEXT) | instid1(VALU_DEP_1)
	v_or_b32_e32 v9, v12, v9
	v_or3_b32 v7, v9, v8, v7
	global_store_b64 v[1:2], v[6:7], off
	v_add_co_u32 v1, vcc_lo, v1, s43
	s_wait_alu 0xfffd
	v_add_co_ci_u32_e64 v2, null, 0, v2, vcc_lo
	s_and_not1_b32 exec_lo, exec_lo, s42
	s_cbranch_execnz .LBB19_46
.LBB19_47:
	s_or_b32 exec_lo, exec_lo, s41
	v_lshl_add_u32 v1, s11, 3, v0
	s_mov_b32 s1, exec_lo
	s_delay_alu instid0(VALU_DEP_1)
	v_cmpx_gt_i32_e64 s40, v1
	s_cbranch_execz .LBB19_50
; %bb.48:
	v_ashrrev_i32_e32 v2, 31, v1
	s_lshl_b64 s[2:3], s[8:9], 1
	s_wait_alu 0xfffe
	s_add_nc_u64 s[6:7], s[16:17], s[24:25]
	s_add_nc_u64 s[2:3], s[38:39], s[2:3]
	s_mov_b32 s11, 0
	v_lshlrev_b64_e32 v[3:4], 1, v[1:2]
	s_wait_alu 0xfffe
	s_add_nc_u64 s[2:3], s[12:13], s[2:3]
	s_lshl_b32 s4, s10, 1
	s_mov_b32 s5, 0x43e00000
	s_wait_alu 0xfffe
	v_add_co_u32 v3, vcc_lo, s2, v3
	s_wait_alu 0xfffd
	v_add_co_ci_u32_e64 v4, null, s3, v4, vcc_lo
	v_add_co_u32 v5, vcc_lo, s6, v1
	s_wait_alu 0xfffd
	v_add_co_ci_u32_e64 v2, null, s7, v2, vcc_lo
	s_mov_b64 s[2:3], 0
	s_mov_b32 s6, s11
.LBB19_49:                              ; =>This Inner Loop Header: Depth=1
	global_load_u16 v6, v[3:4], off
	s_wait_loadcnt 0x0
	v_lshlrev_b32_e32 v7, 16, v6
	s_wait_kmcnt 0x0
	s_delay_alu instid0(VALU_DEP_1) | instskip(NEXT) | instid1(VALU_DEP_1)
	v_div_scale_f32 v6, null, s46, s46, v7
	v_rcp_f32_e32 v8, v6
	s_delay_alu instid0(TRANS32_DEP_1) | instskip(NEXT) | instid1(VALU_DEP_1)
	v_fma_f32 v9, -v6, v8, 1.0
	v_fmac_f32_e32 v8, v9, v8
	v_div_scale_f32 v10, vcc_lo, v7, s46, v7
	s_delay_alu instid0(VALU_DEP_1) | instskip(NEXT) | instid1(VALU_DEP_1)
	v_mul_f32_e32 v9, v10, v8
	v_fma_f32 v11, -v6, v9, v10
	s_delay_alu instid0(VALU_DEP_1) | instskip(NEXT) | instid1(VALU_DEP_1)
	v_fmac_f32_e32 v9, v11, v8
	v_fma_f32 v6, -v6, v9, v10
	v_mov_b32_e32 v10, 0
	s_wait_alu 0xfffd
	s_delay_alu instid0(VALU_DEP_2) | instskip(SKIP_2) | instid1(VALU_DEP_2)
	v_div_fmas_f32 v8, v6, v8, v9
	s_wait_alu 0xfffe
	v_add_co_u32 v6, vcc_lo, v5, s2
	v_div_fixup_f32 v8, v8, s46, v7
	s_wait_alu 0xfffd
	v_add_co_ci_u32_e64 v7, null, s3, v2, vcc_lo
	s_add_nc_u64 s[2:3], s[2:3], s[10:11]
	v_med3_num_f32 v9, v8, s5, 0xc3e00000
	v_cmp_nlg_f32_e64 vcc_lo, 0x7f800000, |v8|
	s_wait_alu 0xfffc
	s_delay_alu instid0(VALU_DEP_2) | instskip(SKIP_1) | instid1(VALU_DEP_2)
	v_dual_cndmask_b32 v8, v9, v8 :: v_dual_add_nc_u32 v11, s2, v1
	v_add_co_u32 v3, vcc_lo, v3, s4
	v_cmp_le_i32_e64 s0, s40, v11
	s_wait_alu 0xfffd
	v_add_co_ci_u32_e64 v4, null, 0, v4, vcc_lo
	v_cvt_pk_fp8_f32 v10, v8, v8
	s_delay_alu instid0(VALU_DEP_3)
	s_or_b32 s6, s0, s6
	global_store_b8 v[6:7], v10, off
	s_wait_alu 0xfffe
	s_and_not1_b32 exec_lo, exec_lo, s6
	s_cbranch_execnz .LBB19_49
.LBB19_50:
	s_wait_alu 0xfffe
	s_or_b32 exec_lo, exec_lo, s1
	s_mov_b32 s0, 0
.LBB19_51:
	s_wait_alu 0xfffe
	s_and_b32 vcc_lo, exec_lo, s0
	s_wait_alu 0xfffe
	s_cbranch_vccz .LBB19_56
; %bb.52:
	s_ashr_i32 s8, s28, 3
	s_mov_b32 s9, exec_lo
	s_wait_alu 0xfffe
	v_cmpx_gt_i32_e64 s8, v0
	s_cbranch_execz .LBB19_55
; %bb.53:
	v_lshlrev_b32_e32 v1, 3, v0
	s_add_nc_u64 s[0:1], s[26:27], s[22:23]
	v_lshlrev_b32_e32 v3, 4, v0
	s_wait_alu 0xfffe
	s_add_nc_u64 s[0:1], s[16:17], s[0:1]
	v_mov_b32_e32 v5, v0
	s_wait_alu 0xfffe
	v_add_co_u32 v1, s0, s0, v1
	s_wait_alu 0xf1ff
	v_add_co_ci_u32_e64 v2, null, s1, 0, s0
	v_add_co_u32 v3, s0, s36, v3
	s_wait_alu 0xf1ff
	v_add_co_ci_u32_e64 v4, null, s37, 0, s0
	s_mov_b32 s11, 0
	s_lshl_b32 s12, s10, 3
	s_lshl_b32 s13, s10, 4
	s_mov_b32 s16, 0x43e00000
.LBB19_54:                              ; =>This Inner Loop Header: Depth=1
	global_load_b128 v[6:9], v[3:4], off
	v_add_co_u32 v3, vcc_lo, v3, s13
	s_wait_alu 0xfffd
	v_add_co_ci_u32_e64 v4, null, 0, v4, vcc_lo
	v_dual_mov_b32 v10, 0 :: v_dual_mov_b32 v11, 0
	v_dual_mov_b32 v12, 0 :: v_dual_mov_b32 v13, 0
	;; [unrolled: 1-line block ×4, first 2 shown]
	s_wait_loadcnt 0x0
	v_lshlrev_b32_e32 v21, 16, v9
	v_and_b32_e32 v9, 0xffff0000, v9
	v_lshlrev_b32_e32 v20, 16, v8
	v_lshlrev_b32_e32 v19, 16, v7
	;; [unrolled: 1-line block ×3, first 2 shown]
	s_wait_kmcnt 0x0
	v_div_scale_f32 v34, null, s46, s46, v21
	v_div_scale_f32 v36, null, s46, s46, v9
	;; [unrolled: 1-line block ×3, first 2 shown]
	s_delay_alu instid0(VALU_DEP_3) | instskip(NEXT) | instid1(VALU_DEP_2)
	v_rcp_f32_e32 v44, v34
	v_rcp_f32_e32 v45, v36
	s_delay_alu instid0(VALU_DEP_1) | instskip(NEXT) | instid1(TRANS32_DEP_3)
	v_rcp_f32_e32 v40, v26
	v_fma_f32 v52, -v34, v44, 1.0
	s_delay_alu instid0(TRANS32_DEP_2) | instskip(SKIP_1) | instid1(TRANS32_DEP_1)
	v_fma_f32 v53, -v36, v45, 1.0
	v_and_b32_e32 v8, 0xffff0000, v8
	v_fma_f32 v48, -v26, v40, 1.0
	s_delay_alu instid0(VALU_DEP_3) | instskip(NEXT) | instid1(VALU_DEP_3)
	v_dual_fmac_f32 v44, v52, v44 :: v_dual_fmac_f32 v45, v53, v45
	v_div_scale_f32 v32, null, s46, s46, v8
	s_delay_alu instid0(VALU_DEP_3) | instskip(SKIP_1) | instid1(VALU_DEP_3)
	v_fmac_f32_e32 v40, v48, v40
	v_div_scale_f32 v27, s2, v19, s46, v19
	v_rcp_f32_e32 v43, v32
	v_div_scale_f32 v33, s5, v8, s46, v8
	v_div_scale_f32 v35, s6, v21, s46, v21
	s_delay_alu instid0(VALU_DEP_3) | instskip(NEXT) | instid1(VALU_DEP_2)
	v_mul_f32_e32 v48, v27, v40
	v_mul_f32_e32 v52, v35, v44
	s_delay_alu instid0(TRANS32_DEP_1) | instskip(NEXT) | instid1(VALU_DEP_3)
	v_fma_f32 v51, -v32, v43, 1.0
	v_fma_f32 v56, -v26, v48, v27
	s_delay_alu instid0(VALU_DEP_3) | instskip(NEXT) | instid1(VALU_DEP_3)
	v_fma_f32 v60, -v34, v52, v35
	v_fmac_f32_e32 v43, v51, v43
	v_div_scale_f32 v30, null, s46, s46, v20
	v_div_scale_f32 v31, s4, v20, s46, v20
	s_delay_alu instid0(VALU_DEP_3) | instskip(NEXT) | instid1(VALU_DEP_3)
	v_mul_f32_e32 v51, v33, v43
	v_rcp_f32_e32 v42, v30
	v_fmac_f32_e32 v52, v60, v44
	v_fmac_f32_e32 v48, v56, v40
	s_delay_alu instid0(VALU_DEP_3) | instskip(NEXT) | instid1(VALU_DEP_1)
	v_fma_f32 v59, -v32, v51, v33
	v_fmac_f32_e32 v51, v59, v43
	s_delay_alu instid0(TRANS32_DEP_1) | instskip(NEXT) | instid1(VALU_DEP_1)
	v_fma_f32 v50, -v30, v42, 1.0
	v_dual_fmac_f32 v42, v50, v42 :: v_dual_and_b32 v7, 0xffff0000, v7
	s_delay_alu instid0(VALU_DEP_1) | instskip(SKIP_1) | instid1(VALU_DEP_3)
	v_div_scale_f32 v28, null, s46, s46, v7
	v_div_scale_f32 v29, s3, v7, s46, v7
	v_mul_f32_e32 v50, v31, v42
	s_delay_alu instid0(VALU_DEP_3) | instskip(NEXT) | instid1(VALU_DEP_1)
	v_rcp_f32_e32 v41, v28
	v_fma_f32 v58, -v30, v50, v31
	s_delay_alu instid0(VALU_DEP_1) | instskip(NEXT) | instid1(TRANS32_DEP_1)
	v_fmac_f32_e32 v50, v58, v42
	v_fma_f32 v49, -v28, v41, 1.0
	s_delay_alu instid0(VALU_DEP_1) | instskip(NEXT) | instid1(VALU_DEP_1)
	v_dual_fmac_f32 v41, v49, v41 :: v_dual_and_b32 v6, 0xffff0000, v6
	v_div_scale_f32 v24, null, s46, s46, v6
	v_div_scale_f32 v25, s1, v6, s46, v6
	s_delay_alu instid0(VALU_DEP_3) | instskip(NEXT) | instid1(VALU_DEP_3)
	v_mul_f32_e32 v49, v29, v41
	v_rcp_f32_e32 v39, v24
	s_delay_alu instid0(VALU_DEP_1) | instskip(NEXT) | instid1(VALU_DEP_1)
	v_fma_f32 v57, -v28, v49, v29
	v_fmac_f32_e32 v49, v57, v41
	s_delay_alu instid0(TRANS32_DEP_1) | instskip(NEXT) | instid1(VALU_DEP_1)
	v_fma_f32 v47, -v24, v39, 1.0
	v_fmac_f32_e32 v39, v47, v39
	v_div_scale_f32 v22, null, s46, s46, v18
	v_div_scale_f32 v23, vcc_lo, v18, s46, v18
	s_delay_alu instid0(VALU_DEP_3) | instskip(NEXT) | instid1(VALU_DEP_3)
	v_mul_f32_e32 v47, v25, v39
	v_rcp_f32_e32 v38, v22
	s_delay_alu instid0(VALU_DEP_1) | instskip(NEXT) | instid1(VALU_DEP_1)
	v_fma_f32 v55, -v24, v47, v25
	v_fmac_f32_e32 v47, v55, v39
	s_delay_alu instid0(TRANS32_DEP_1) | instskip(NEXT) | instid1(VALU_DEP_1)
	v_fma_f32 v46, -v22, v38, 1.0
	v_dual_fmac_f32 v38, v46, v38 :: v_dual_add_nc_u32 v5, s10, v5
	s_delay_alu instid0(VALU_DEP_1) | instskip(NEXT) | instid1(VALU_DEP_2)
	v_cmp_le_i32_e64 s0, s8, v5
	v_mul_f32_e32 v46, v23, v38
	v_div_scale_f32 v37, s7, v9, s46, v9
	s_wait_alu 0xfffe
	s_delay_alu instid0(VALU_DEP_3) | instskip(NEXT) | instid1(VALU_DEP_2)
	s_or_b32 s11, s0, s11
	v_fma_f32 v54, -v22, v46, v23
	s_delay_alu instid0(VALU_DEP_1) | instskip(NEXT) | instid1(VALU_DEP_1)
	v_dual_mul_f32 v53, v37, v45 :: v_dual_fmac_f32 v46, v54, v38
	v_fma_f32 v61, -v36, v53, v37
	s_delay_alu instid0(VALU_DEP_2)
	v_fma_f32 v22, -v22, v46, v23
	v_fma_f32 v23, -v24, v47, v25
	;; [unrolled: 1-line block ×5, first 2 shown]
	s_wait_alu 0xfffd
	v_div_fmas_f32 v22, v22, v38, v46
	s_mov_b32 vcc_lo, s1
	v_fma_f32 v27, -v32, v51, v33
	s_wait_alu 0xfffe
	v_div_fmas_f32 v23, v23, v39, v47
	s_mov_b32 vcc_lo, s2
	v_div_fixup_f32 v18, v22, s46, v18
	s_wait_alu 0xfffe
	v_div_fmas_f32 v24, v24, v40, v48
	s_mov_b32 vcc_lo, s3
	v_fma_f32 v28, -v34, v52, v35
	s_wait_alu 0xfffe
	v_div_fmas_f32 v22, v25, v41, v49
	v_cmp_nlg_f32_e64 s1, 0x7f800000, |v18|
	v_div_fixup_f32 v19, v24, s46, v19
	v_med3_num_f32 v24, v18, s16, 0xc3e00000
	s_mov_b32 vcc_lo, s4
	v_div_fixup_f32 v6, v23, s46, v6
	s_wait_alu 0xfffe
	v_div_fmas_f32 v23, v26, v42, v50
	s_mov_b32 vcc_lo, s5
	v_cndmask_b32_e64 v18, v24, v18, s1
	s_wait_alu 0xfffe
	v_div_fmas_f32 v25, v27, v43, v51
	s_mov_b32 vcc_lo, s6
	v_div_fixup_f32 v7, v22, s46, v7
	v_med3_num_f32 v22, v6, s16, 0xc3e00000
	v_cvt_pk_fp8_f32 v10, v18, v18
	v_fmac_f32_e32 v53, v61, v45
	v_cmp_nlg_f32_e64 s2, 0x7f800000, |v6|
	s_wait_alu 0xfffe
	v_div_fmas_f32 v26, v28, v44, v52
	s_mov_b32 vcc_lo, s7
	v_and_b32_e32 v10, 0xff, v10
	v_fma_f32 v29, -v36, v53, v37
	v_div_fixup_f32 v20, v23, s46, v20
	v_med3_num_f32 v23, v19, s16, 0xc3e00000
	v_cmp_nlg_f32_e64 s3, 0x7f800000, |v19|
	v_div_fixup_f32 v8, v25, s46, v8
	s_wait_alu 0xfffe
	v_div_fmas_f32 v27, v29, v45, v53
	v_med3_num_f32 v24, v7, s16, 0xc3e00000
	v_cmp_nlg_f32_e64 vcc_lo, 0x7f800000, |v7|
	v_cndmask_b32_e64 v6, v22, v6, s2
	v_div_fixup_f32 v21, v26, s46, v21
	v_med3_num_f32 v22, v20, s16, 0xc3e00000
	v_cmp_nlg_f32_e64 s1, 0x7f800000, |v20|
	s_wait_alu 0xf1ff
	v_cndmask_b32_e64 v19, v23, v19, s3
	v_div_fixup_f32 v9, v27, s46, v9
	v_med3_num_f32 v18, v8, s16, 0xc3e00000
	v_cmp_nlg_f32_e64 s2, 0x7f800000, |v8|
	v_cvt_pk_fp8_f32 v11, v6, v6
	v_med3_num_f32 v6, v21, s16, 0xc3e00000
	s_wait_alu 0xfffd
	v_cndmask_b32_e32 v7, v24, v7, vcc_lo
	v_cmp_nlg_f32_e64 vcc_lo, 0x7f800000, |v21|
	v_cndmask_b32_e64 v20, v22, v20, s1
	v_cvt_pk_fp8_f32 v12, v19, v19
	v_med3_num_f32 v19, v9, s16, 0xc3e00000
	v_cmp_nlg_f32_e64 s1, 0x7f800000, |v9|
	s_wait_alu 0xf1ff
	v_cndmask_b32_e64 v8, v18, v8, s2
	s_wait_alu 0xfffd
	v_cndmask_b32_e32 v6, v6, v21, vcc_lo
	v_cvt_pk_fp8_f32 v13, v7, v7
	v_lshlrev_b32_e32 v7, 8, v11
	v_cndmask_b32_e64 v9, v19, v9, s1
	v_lshlrev_b32_e32 v11, 16, v12
	v_cvt_pk_fp8_f32 v15, v8, v8
	v_cvt_pk_fp8_f32 v16, v6, v6
	v_and_b32_e32 v6, 0xff00, v7
	v_cvt_pk_fp8_f32 v17, v9, v9
	v_perm_b32 v8, v13, v11, 0x4020c0c
	v_and_b32_e32 v9, 0xff, v15
	v_and_b32_e32 v11, 0xff, v16
	v_cvt_pk_fp8_f32 v14, v20, v20
	v_lshlrev_b32_e32 v12, 24, v17
	v_or3_b32 v6, v8, v6, v10
	v_lshlrev_b32_e32 v8, 8, v9
	v_lshlrev_b32_e32 v9, 16, v11
	v_and_b32_e32 v7, 0xff, v14
	s_delay_alu instid0(VALU_DEP_2) | instskip(NEXT) | instid1(VALU_DEP_1)
	v_or_b32_e32 v9, v12, v9
	v_or3_b32 v7, v9, v8, v7
	global_store_b64 v[1:2], v[6:7], off
	v_add_co_u32 v1, vcc_lo, v1, s12
	s_wait_alu 0xfffd
	v_add_co_ci_u32_e64 v2, null, 0, v2, vcc_lo
	s_and_not1_b32 exec_lo, exec_lo, s11
	s_cbranch_execnz .LBB19_54
.LBB19_55:
	s_or_b32 exec_lo, exec_lo, s9
.LBB19_56:
	s_and_b32 s0, s20, 15
	s_mov_b32 s1, 0
	s_wait_alu 0xfffe
	s_cmp_lg_u64 s[0:1], 0
	s_cselect_b32 s0, -1, 0
	s_xor_b32 s1, s29, -1
	s_wait_alu 0xfffe
	s_or_b32 s0, s1, s0
	s_wait_alu 0xfffe
	s_and_b32 vcc_lo, exec_lo, s0
	s_mov_b32 s0, -1
	s_wait_alu 0xfffe
	s_cbranch_vccz .LBB19_67
; %bb.57:
	s_sub_co_i32 s0, 0, s20
	s_mov_b32 s1, exec_lo
	s_wait_alu 0xfffe
	s_bfe_u32 s0, s0, 0x30001
	s_wait_alu 0xfffe
	s_min_i32 s8, s0, s28
	s_wait_alu 0xfffe
	v_cmpx_gt_i32_e64 s8, v0
	s_cbranch_execz .LBB19_60
; %bb.58:
	v_dual_mov_b32 v1, 0 :: v_dual_lshlrev_b32 v2, 1, v0
	s_mov_b32 s2, 0
	s_lshl_b32 s3, s10, 1
	s_mov_b32 s4, 0x43e00000
	s_delay_alu instid0(VALU_DEP_1)
	v_add_co_u32 v2, s0, s20, v2
	s_wait_alu 0xf1ff
	v_add_co_ci_u32_e64 v3, null, s21, 0, s0
	v_dual_mov_b32 v5, v1 :: v_dual_mov_b32 v4, v0
.LBB19_59:                              ; =>This Inner Loop Header: Depth=1
	global_load_u16 v1, v[2:3], off
	s_wait_loadcnt 0x0
	v_lshlrev_b32_e32 v1, 16, v1
	s_wait_kmcnt 0x0
	s_delay_alu instid0(VALU_DEP_1) | instskip(SKIP_1) | instid1(VALU_DEP_2)
	v_div_scale_f32 v6, null, s33, s33, v1
	v_div_scale_f32 v9, vcc_lo, v1, s33, v1
	v_rcp_f32_e32 v7, v6
	s_delay_alu instid0(TRANS32_DEP_1) | instskip(NEXT) | instid1(VALU_DEP_1)
	v_fma_f32 v8, -v6, v7, 1.0
	v_fmac_f32_e32 v7, v8, v7
	s_delay_alu instid0(VALU_DEP_1) | instskip(NEXT) | instid1(VALU_DEP_1)
	v_mul_f32_e32 v8, v9, v7
	v_fma_f32 v10, -v6, v8, v9
	s_delay_alu instid0(VALU_DEP_1) | instskip(NEXT) | instid1(VALU_DEP_1)
	v_fmac_f32_e32 v8, v10, v7
	v_fma_f32 v6, -v6, v8, v9
	s_wait_alu 0xfffd
	s_delay_alu instid0(VALU_DEP_1) | instskip(SKIP_3) | instid1(VALU_DEP_3)
	v_div_fmas_f32 v8, v6, v7, v8
	v_add_co_u32 v6, vcc_lo, s34, v4
	s_wait_alu 0xfffd
	v_add_co_ci_u32_e64 v7, null, s35, v5, vcc_lo
	v_div_fixup_f32 v1, v8, s33, v1
	v_add_co_u32 v4, vcc_lo, v4, s10
	s_wait_alu 0xfffd
	v_add_co_ci_u32_e64 v5, null, 0, v5, vcc_lo
	s_wait_alu 0xfffe
	v_med3_num_f32 v9, v1, s4, 0xc3e00000
	v_cmp_nlg_f32_e64 vcc_lo, 0x7f800000, |v1|
	v_mov_b32_e32 v8, 0
	v_cmp_le_i32_e64 s0, s8, v4
	s_wait_alu 0xfffd
	v_cndmask_b32_e32 v1, v9, v1, vcc_lo
	v_add_co_u32 v2, vcc_lo, v2, s3
	s_wait_alu 0xfffd
	v_add_co_ci_u32_e64 v3, null, 0, v3, vcc_lo
	s_delay_alu instid0(VALU_DEP_3)
	v_cvt_pk_fp8_f32 v8, v1, v1
	s_or_b32 s2, s0, s2
	global_store_b8 v[6:7], v8, off
	s_wait_alu 0xfffe
	s_and_not1_b32 exec_lo, exec_lo, s2
	s_cbranch_execnz .LBB19_59
.LBB19_60:
	s_or_b32 exec_lo, exec_lo, s1
	s_sub_co_i32 s16, s28, s8
	s_ashr_i32 s9, s8, 31
	s_wait_alu 0xfffe
	s_ashr_i32 s0, s16, 31
	s_mov_b32 s17, exec_lo
	s_wait_alu 0xfffe
	s_lshr_b32 s0, s0, 29
	s_wait_alu 0xfffe
	s_add_co_i32 s0, s16, s0
	s_wait_alu 0xfffe
	s_ashr_i32 s11, s0, 3
	s_add_nc_u64 s[0:1], s[8:9], s[26:27]
	s_wait_alu 0xfffe
	s_add_nc_u64 s[12:13], s[0:1], s[22:23]
	v_cmpx_gt_i32_e64 s11, v0
	s_cbranch_execz .LBB19_63
; %bb.61:
	v_lshlrev_b32_e32 v1, 3, v0
	s_wait_alu 0xfffe
	s_add_nc_u64 s[0:1], s[18:19], s[12:13]
	s_lshl_b64 s[2:3], s[8:9], 1
	v_lshlrev_b32_e32 v3, 4, v0
	s_wait_alu 0xfffe
	s_add_nc_u64 s[2:3], s[14:15], s[2:3]
	v_add_co_u32 v1, s0, s0, v1
	s_wait_alu 0xf1ff
	v_add_co_ci_u32_e64 v2, null, s1, 0, s0
	s_wait_alu 0xfffe
	s_add_nc_u64 s[0:1], s[2:3], s[30:31]
	v_mov_b32_e32 v5, v0
	s_wait_alu 0xfffe
	v_add_co_u32 v3, s0, s0, v3
	s_wait_alu 0xf1ff
	v_add_co_ci_u32_e64 v4, null, s1, 0, s0
	s_mov_b32 s24, 0
	s_lshl_b32 s25, s10, 3
	s_lshl_b32 s29, s10, 4
	s_mov_b32 s34, 0x43e00000
.LBB19_62:                              ; =>This Inner Loop Header: Depth=1
	global_load_b128 v[6:9], v[3:4], off
	s_wait_alu 0xfffe
	v_add_co_u32 v3, vcc_lo, v3, s29
	s_wait_alu 0xfffd
	v_add_co_ci_u32_e64 v4, null, 0, v4, vcc_lo
	v_dual_mov_b32 v10, 0 :: v_dual_mov_b32 v11, 0
	v_dual_mov_b32 v12, 0 :: v_dual_mov_b32 v13, 0
	;; [unrolled: 1-line block ×4, first 2 shown]
	s_wait_loadcnt 0x0
	v_lshlrev_b32_e32 v21, 16, v9
	v_and_b32_e32 v9, 0xffff0000, v9
	v_lshlrev_b32_e32 v20, 16, v8
	v_lshlrev_b32_e32 v19, 16, v7
	;; [unrolled: 1-line block ×3, first 2 shown]
	s_wait_kmcnt 0x0
	v_div_scale_f32 v34, null, s33, s33, v21
	v_div_scale_f32 v36, null, s33, s33, v9
	;; [unrolled: 1-line block ×3, first 2 shown]
	s_delay_alu instid0(VALU_DEP_3) | instskip(NEXT) | instid1(VALU_DEP_2)
	v_rcp_f32_e32 v44, v34
	v_rcp_f32_e32 v45, v36
	s_delay_alu instid0(VALU_DEP_1) | instskip(NEXT) | instid1(TRANS32_DEP_3)
	v_rcp_f32_e32 v40, v26
	v_fma_f32 v52, -v34, v44, 1.0
	s_delay_alu instid0(TRANS32_DEP_2) | instskip(SKIP_1) | instid1(TRANS32_DEP_1)
	v_fma_f32 v53, -v36, v45, 1.0
	v_and_b32_e32 v8, 0xffff0000, v8
	v_fma_f32 v48, -v26, v40, 1.0
	s_delay_alu instid0(VALU_DEP_3) | instskip(NEXT) | instid1(VALU_DEP_3)
	v_dual_fmac_f32 v44, v52, v44 :: v_dual_fmac_f32 v45, v53, v45
	v_div_scale_f32 v32, null, s33, s33, v8
	s_delay_alu instid0(VALU_DEP_3) | instskip(SKIP_1) | instid1(VALU_DEP_3)
	v_fmac_f32_e32 v40, v48, v40
	v_div_scale_f32 v27, s2, v19, s33, v19
	v_rcp_f32_e32 v43, v32
	v_div_scale_f32 v33, s5, v8, s33, v8
	v_div_scale_f32 v35, s6, v21, s33, v21
	s_delay_alu instid0(VALU_DEP_3) | instskip(NEXT) | instid1(VALU_DEP_2)
	v_mul_f32_e32 v48, v27, v40
	v_mul_f32_e32 v52, v35, v44
	s_delay_alu instid0(TRANS32_DEP_1) | instskip(NEXT) | instid1(VALU_DEP_3)
	v_fma_f32 v51, -v32, v43, 1.0
	v_fma_f32 v56, -v26, v48, v27
	s_delay_alu instid0(VALU_DEP_3) | instskip(NEXT) | instid1(VALU_DEP_3)
	v_fma_f32 v60, -v34, v52, v35
	v_fmac_f32_e32 v43, v51, v43
	v_div_scale_f32 v30, null, s33, s33, v20
	v_div_scale_f32 v31, s4, v20, s33, v20
	s_delay_alu instid0(VALU_DEP_3) | instskip(NEXT) | instid1(VALU_DEP_3)
	v_mul_f32_e32 v51, v33, v43
	v_rcp_f32_e32 v42, v30
	v_fmac_f32_e32 v52, v60, v44
	v_fmac_f32_e32 v48, v56, v40
	s_delay_alu instid0(VALU_DEP_3) | instskip(NEXT) | instid1(VALU_DEP_1)
	v_fma_f32 v59, -v32, v51, v33
	v_fmac_f32_e32 v51, v59, v43
	s_delay_alu instid0(TRANS32_DEP_1) | instskip(NEXT) | instid1(VALU_DEP_1)
	v_fma_f32 v50, -v30, v42, 1.0
	v_dual_fmac_f32 v42, v50, v42 :: v_dual_and_b32 v7, 0xffff0000, v7
	s_delay_alu instid0(VALU_DEP_1) | instskip(SKIP_1) | instid1(VALU_DEP_3)
	v_div_scale_f32 v28, null, s33, s33, v7
	v_div_scale_f32 v29, s3, v7, s33, v7
	v_mul_f32_e32 v50, v31, v42
	s_delay_alu instid0(VALU_DEP_3) | instskip(NEXT) | instid1(VALU_DEP_1)
	v_rcp_f32_e32 v41, v28
	v_fma_f32 v58, -v30, v50, v31
	s_delay_alu instid0(VALU_DEP_1) | instskip(NEXT) | instid1(TRANS32_DEP_1)
	v_fmac_f32_e32 v50, v58, v42
	v_fma_f32 v49, -v28, v41, 1.0
	s_delay_alu instid0(VALU_DEP_1) | instskip(NEXT) | instid1(VALU_DEP_1)
	v_dual_fmac_f32 v41, v49, v41 :: v_dual_and_b32 v6, 0xffff0000, v6
	v_div_scale_f32 v24, null, s33, s33, v6
	v_div_scale_f32 v25, s1, v6, s33, v6
	s_delay_alu instid0(VALU_DEP_3) | instskip(NEXT) | instid1(VALU_DEP_3)
	v_mul_f32_e32 v49, v29, v41
	v_rcp_f32_e32 v39, v24
	s_delay_alu instid0(VALU_DEP_1) | instskip(NEXT) | instid1(VALU_DEP_1)
	v_fma_f32 v57, -v28, v49, v29
	v_fmac_f32_e32 v49, v57, v41
	s_delay_alu instid0(TRANS32_DEP_1) | instskip(NEXT) | instid1(VALU_DEP_1)
	v_fma_f32 v47, -v24, v39, 1.0
	v_fmac_f32_e32 v39, v47, v39
	v_div_scale_f32 v22, null, s33, s33, v18
	v_div_scale_f32 v23, vcc_lo, v18, s33, v18
	s_delay_alu instid0(VALU_DEP_3) | instskip(NEXT) | instid1(VALU_DEP_3)
	v_mul_f32_e32 v47, v25, v39
	v_rcp_f32_e32 v38, v22
	s_delay_alu instid0(VALU_DEP_1) | instskip(NEXT) | instid1(VALU_DEP_1)
	v_fma_f32 v55, -v24, v47, v25
	v_fmac_f32_e32 v47, v55, v39
	s_delay_alu instid0(TRANS32_DEP_1) | instskip(NEXT) | instid1(VALU_DEP_1)
	v_fma_f32 v46, -v22, v38, 1.0
	v_dual_fmac_f32 v38, v46, v38 :: v_dual_add_nc_u32 v5, s10, v5
	s_delay_alu instid0(VALU_DEP_1) | instskip(NEXT) | instid1(VALU_DEP_2)
	v_cmp_le_i32_e64 s0, s11, v5
	v_mul_f32_e32 v46, v23, v38
	v_div_scale_f32 v37, s7, v9, s33, v9
	s_or_b32 s24, s0, s24
	v_fma_f32 v54, -v22, v46, v23
	s_delay_alu instid0(VALU_DEP_1) | instskip(NEXT) | instid1(VALU_DEP_1)
	v_dual_mul_f32 v53, v37, v45 :: v_dual_fmac_f32 v46, v54, v38
	v_fma_f32 v61, -v36, v53, v37
	s_delay_alu instid0(VALU_DEP_2)
	v_fma_f32 v22, -v22, v46, v23
	v_fma_f32 v23, -v24, v47, v25
	;; [unrolled: 1-line block ×5, first 2 shown]
	s_wait_alu 0xfffd
	v_div_fmas_f32 v22, v22, v38, v46
	s_mov_b32 vcc_lo, s1
	v_fma_f32 v27, -v32, v51, v33
	s_wait_alu 0xfffe
	v_div_fmas_f32 v23, v23, v39, v47
	s_mov_b32 vcc_lo, s2
	v_div_fixup_f32 v18, v22, s33, v18
	s_wait_alu 0xfffe
	v_div_fmas_f32 v24, v24, v40, v48
	s_mov_b32 vcc_lo, s3
	v_fma_f32 v28, -v34, v52, v35
	s_wait_alu 0xfffe
	v_div_fmas_f32 v22, v25, v41, v49
	v_cmp_nlg_f32_e64 s1, 0x7f800000, |v18|
	v_div_fixup_f32 v19, v24, s33, v19
	v_med3_num_f32 v24, v18, s34, 0xc3e00000
	s_mov_b32 vcc_lo, s4
	v_div_fixup_f32 v6, v23, s33, v6
	s_wait_alu 0xfffe
	v_div_fmas_f32 v23, v26, v42, v50
	s_mov_b32 vcc_lo, s5
	v_cndmask_b32_e64 v18, v24, v18, s1
	s_wait_alu 0xfffe
	v_div_fmas_f32 v25, v27, v43, v51
	s_mov_b32 vcc_lo, s6
	v_div_fixup_f32 v7, v22, s33, v7
	v_med3_num_f32 v22, v6, s34, 0xc3e00000
	v_cvt_pk_fp8_f32 v10, v18, v18
	v_fmac_f32_e32 v53, v61, v45
	v_cmp_nlg_f32_e64 s2, 0x7f800000, |v6|
	s_wait_alu 0xfffe
	v_div_fmas_f32 v26, v28, v44, v52
	s_mov_b32 vcc_lo, s7
	v_and_b32_e32 v10, 0xff, v10
	v_fma_f32 v29, -v36, v53, v37
	v_div_fixup_f32 v20, v23, s33, v20
	v_med3_num_f32 v23, v19, s34, 0xc3e00000
	v_cmp_nlg_f32_e64 s3, 0x7f800000, |v19|
	v_div_fixup_f32 v8, v25, s33, v8
	s_wait_alu 0xfffe
	v_div_fmas_f32 v27, v29, v45, v53
	v_med3_num_f32 v24, v7, s34, 0xc3e00000
	v_cmp_nlg_f32_e64 vcc_lo, 0x7f800000, |v7|
	v_cndmask_b32_e64 v6, v22, v6, s2
	v_div_fixup_f32 v21, v26, s33, v21
	v_med3_num_f32 v22, v20, s34, 0xc3e00000
	v_cmp_nlg_f32_e64 s1, 0x7f800000, |v20|
	s_wait_alu 0xf1ff
	v_cndmask_b32_e64 v19, v23, v19, s3
	v_div_fixup_f32 v9, v27, s33, v9
	v_med3_num_f32 v18, v8, s34, 0xc3e00000
	v_cmp_nlg_f32_e64 s2, 0x7f800000, |v8|
	v_cvt_pk_fp8_f32 v11, v6, v6
	v_med3_num_f32 v6, v21, s34, 0xc3e00000
	s_wait_alu 0xfffd
	v_cndmask_b32_e32 v7, v24, v7, vcc_lo
	v_cmp_nlg_f32_e64 vcc_lo, 0x7f800000, |v21|
	v_cndmask_b32_e64 v20, v22, v20, s1
	v_cvt_pk_fp8_f32 v12, v19, v19
	v_med3_num_f32 v19, v9, s34, 0xc3e00000
	v_cmp_nlg_f32_e64 s1, 0x7f800000, |v9|
	s_wait_alu 0xf1ff
	v_cndmask_b32_e64 v8, v18, v8, s2
	s_wait_alu 0xfffd
	v_cndmask_b32_e32 v6, v6, v21, vcc_lo
	v_cvt_pk_fp8_f32 v13, v7, v7
	v_lshlrev_b32_e32 v7, 8, v11
	v_cndmask_b32_e64 v9, v19, v9, s1
	v_lshlrev_b32_e32 v11, 16, v12
	v_cvt_pk_fp8_f32 v15, v8, v8
	v_cvt_pk_fp8_f32 v16, v6, v6
	v_and_b32_e32 v6, 0xff00, v7
	v_cvt_pk_fp8_f32 v17, v9, v9
	v_perm_b32 v8, v13, v11, 0x4020c0c
	v_and_b32_e32 v9, 0xff, v15
	v_and_b32_e32 v11, 0xff, v16
	v_cvt_pk_fp8_f32 v14, v20, v20
	v_lshlrev_b32_e32 v12, 24, v17
	v_or3_b32 v6, v8, v6, v10
	v_lshlrev_b32_e32 v8, 8, v9
	v_lshlrev_b32_e32 v9, 16, v11
	v_and_b32_e32 v7, 0xff, v14
	s_delay_alu instid0(VALU_DEP_2) | instskip(NEXT) | instid1(VALU_DEP_1)
	v_or_b32_e32 v9, v12, v9
	v_or3_b32 v7, v9, v8, v7
	global_store_b64 v[1:2], v[6:7], off
	v_add_co_u32 v1, vcc_lo, v1, s25
	s_wait_alu 0xfffd
	v_add_co_ci_u32_e64 v2, null, 0, v2, vcc_lo
	s_and_not1_b32 exec_lo, exec_lo, s24
	s_cbranch_execnz .LBB19_62
.LBB19_63:
	s_or_b32 exec_lo, exec_lo, s17
	v_lshl_add_u32 v1, s11, 3, v0
	s_mov_b32 s1, exec_lo
	s_delay_alu instid0(VALU_DEP_1)
	v_cmpx_gt_i32_e64 s16, v1
	s_cbranch_execz .LBB19_66
; %bb.64:
	v_ashrrev_i32_e32 v2, 31, v1
	s_lshl_b64 s[2:3], s[8:9], 1
	s_wait_alu 0xfffe
	s_add_nc_u64 s[6:7], s[18:19], s[12:13]
	s_add_nc_u64 s[2:3], s[30:31], s[2:3]
	s_mov_b32 s11, 0
	v_lshlrev_b64_e32 v[3:4], 1, v[1:2]
	s_wait_alu 0xfffe
	s_add_nc_u64 s[2:3], s[14:15], s[2:3]
	s_lshl_b32 s4, s10, 1
	s_mov_b32 s5, 0x43e00000
	s_wait_alu 0xfffe
	v_add_co_u32 v3, vcc_lo, s2, v3
	s_wait_alu 0xfffd
	v_add_co_ci_u32_e64 v4, null, s3, v4, vcc_lo
	v_add_co_u32 v5, vcc_lo, s6, v1
	s_wait_alu 0xfffd
	v_add_co_ci_u32_e64 v2, null, s7, v2, vcc_lo
	s_mov_b64 s[2:3], 0
	s_mov_b32 s6, s11
.LBB19_65:                              ; =>This Inner Loop Header: Depth=1
	global_load_u16 v6, v[3:4], off
	s_wait_loadcnt 0x0
	v_lshlrev_b32_e32 v7, 16, v6
	s_wait_kmcnt 0x0
	s_delay_alu instid0(VALU_DEP_1) | instskip(NEXT) | instid1(VALU_DEP_1)
	v_div_scale_f32 v6, null, s33, s33, v7
	v_rcp_f32_e32 v8, v6
	s_delay_alu instid0(TRANS32_DEP_1) | instskip(NEXT) | instid1(VALU_DEP_1)
	v_fma_f32 v9, -v6, v8, 1.0
	v_fmac_f32_e32 v8, v9, v8
	v_div_scale_f32 v10, vcc_lo, v7, s33, v7
	s_delay_alu instid0(VALU_DEP_1) | instskip(NEXT) | instid1(VALU_DEP_1)
	v_mul_f32_e32 v9, v10, v8
	v_fma_f32 v11, -v6, v9, v10
	s_delay_alu instid0(VALU_DEP_1) | instskip(NEXT) | instid1(VALU_DEP_1)
	v_fmac_f32_e32 v9, v11, v8
	v_fma_f32 v6, -v6, v9, v10
	v_mov_b32_e32 v10, 0
	s_wait_alu 0xfffd
	s_delay_alu instid0(VALU_DEP_2) | instskip(SKIP_2) | instid1(VALU_DEP_2)
	v_div_fmas_f32 v8, v6, v8, v9
	s_wait_alu 0xfffe
	v_add_co_u32 v6, vcc_lo, v5, s2
	v_div_fixup_f32 v8, v8, s33, v7
	s_wait_alu 0xfffd
	v_add_co_ci_u32_e64 v7, null, s3, v2, vcc_lo
	s_add_nc_u64 s[2:3], s[2:3], s[10:11]
	v_med3_num_f32 v9, v8, s5, 0xc3e00000
	v_cmp_nlg_f32_e64 vcc_lo, 0x7f800000, |v8|
	s_wait_alu 0xfffc
	s_delay_alu instid0(VALU_DEP_2) | instskip(SKIP_1) | instid1(VALU_DEP_2)
	v_dual_cndmask_b32 v8, v9, v8 :: v_dual_add_nc_u32 v11, s2, v1
	v_add_co_u32 v3, vcc_lo, v3, s4
	v_cmp_le_i32_e64 s0, s16, v11
	s_wait_alu 0xfffd
	v_add_co_ci_u32_e64 v4, null, 0, v4, vcc_lo
	v_cvt_pk_fp8_f32 v10, v8, v8
	s_delay_alu instid0(VALU_DEP_3)
	s_or_b32 s6, s0, s6
	global_store_b8 v[6:7], v10, off
	s_wait_alu 0xfffe
	s_and_not1_b32 exec_lo, exec_lo, s6
	s_cbranch_execnz .LBB19_65
.LBB19_66:
	s_wait_alu 0xfffe
	s_or_b32 exec_lo, exec_lo, s1
	s_mov_b32 s0, 0
.LBB19_67:
	s_wait_alu 0xfffe
	s_and_b32 vcc_lo, exec_lo, s0
	s_wait_alu 0xfffe
	s_cbranch_vccz .LBB19_71
; %bb.68:
	s_ashr_i32 s8, s28, 3
	s_mov_b32 s0, exec_lo
	s_wait_alu 0xfffe
	v_cmpx_gt_i32_e64 s8, v0
	s_cbranch_execz .LBB19_71
; %bb.69:
	v_lshlrev_b32_e32 v1, 3, v0
	s_add_nc_u64 s[0:1], s[26:27], s[22:23]
	v_lshlrev_b32_e32 v3, 4, v0
	s_wait_alu 0xfffe
	s_add_nc_u64 s[0:1], s[18:19], s[0:1]
	s_mov_b32 s9, 0
	s_wait_alu 0xfffe
	v_add_co_u32 v1, s0, s0, v1
	s_wait_alu 0xf1ff
	v_add_co_ci_u32_e64 v2, null, s1, 0, s0
	v_add_co_u32 v3, s0, s20, v3
	s_wait_alu 0xf1ff
	v_add_co_ci_u32_e64 v4, null, s21, 0, s0
	s_lshl_b32 s11, s10, 3
	s_lshl_b32 s12, s10, 4
	s_mov_b32 s13, 0x43e00000
.LBB19_70:                              ; =>This Inner Loop Header: Depth=1
	global_load_b128 v[5:8], v[3:4], off
	s_wait_alu 0xfffe
	v_add_co_u32 v3, vcc_lo, v3, s12
	s_wait_alu 0xfffd
	v_add_co_ci_u32_e64 v4, null, 0, v4, vcc_lo
	v_dual_mov_b32 v9, 0 :: v_dual_mov_b32 v10, 0
	v_dual_mov_b32 v11, 0 :: v_dual_mov_b32 v12, 0
	;; [unrolled: 1-line block ×4, first 2 shown]
	s_wait_loadcnt 0x0
	v_lshlrev_b32_e32 v20, 16, v8
	v_and_b32_e32 v8, 0xffff0000, v8
	v_lshlrev_b32_e32 v19, 16, v7
	v_lshlrev_b32_e32 v18, 16, v6
	;; [unrolled: 1-line block ×3, first 2 shown]
	s_wait_kmcnt 0x0
	v_div_scale_f32 v33, null, s33, s33, v20
	v_div_scale_f32 v35, null, s33, s33, v8
	v_div_scale_f32 v25, null, s33, s33, v18
	s_delay_alu instid0(VALU_DEP_3) | instskip(NEXT) | instid1(VALU_DEP_2)
	v_rcp_f32_e32 v43, v33
	v_rcp_f32_e32 v44, v35
	s_delay_alu instid0(VALU_DEP_1) | instskip(NEXT) | instid1(TRANS32_DEP_3)
	v_rcp_f32_e32 v39, v25
	v_fma_f32 v51, -v33, v43, 1.0
	s_delay_alu instid0(TRANS32_DEP_2) | instskip(SKIP_1) | instid1(TRANS32_DEP_1)
	v_fma_f32 v52, -v35, v44, 1.0
	v_and_b32_e32 v7, 0xffff0000, v7
	v_fma_f32 v47, -v25, v39, 1.0
	s_delay_alu instid0(VALU_DEP_3) | instskip(NEXT) | instid1(VALU_DEP_3)
	v_dual_fmac_f32 v43, v51, v43 :: v_dual_fmac_f32 v44, v52, v44
	v_div_scale_f32 v31, null, s33, s33, v7
	s_delay_alu instid0(VALU_DEP_3) | instskip(SKIP_1) | instid1(VALU_DEP_3)
	v_fmac_f32_e32 v39, v47, v39
	v_div_scale_f32 v26, s2, v18, s33, v18
	v_rcp_f32_e32 v42, v31
	v_div_scale_f32 v32, s5, v7, s33, v7
	v_div_scale_f32 v34, s6, v20, s33, v20
	s_delay_alu instid0(VALU_DEP_3) | instskip(NEXT) | instid1(VALU_DEP_2)
	v_mul_f32_e32 v47, v26, v39
	v_mul_f32_e32 v51, v34, v43
	s_delay_alu instid0(TRANS32_DEP_1) | instskip(NEXT) | instid1(VALU_DEP_3)
	v_fma_f32 v50, -v31, v42, 1.0
	v_fma_f32 v55, -v25, v47, v26
	s_delay_alu instid0(VALU_DEP_3) | instskip(NEXT) | instid1(VALU_DEP_3)
	v_fma_f32 v59, -v33, v51, v34
	v_fmac_f32_e32 v42, v50, v42
	v_div_scale_f32 v29, null, s33, s33, v19
	v_div_scale_f32 v30, s4, v19, s33, v19
	s_delay_alu instid0(VALU_DEP_3) | instskip(NEXT) | instid1(VALU_DEP_3)
	v_mul_f32_e32 v50, v32, v42
	v_rcp_f32_e32 v41, v29
	v_fmac_f32_e32 v51, v59, v43
	v_fmac_f32_e32 v47, v55, v39
	s_delay_alu instid0(VALU_DEP_3) | instskip(NEXT) | instid1(VALU_DEP_1)
	v_fma_f32 v58, -v31, v50, v32
	v_fmac_f32_e32 v50, v58, v42
	s_delay_alu instid0(TRANS32_DEP_1) | instskip(NEXT) | instid1(VALU_DEP_1)
	v_fma_f32 v49, -v29, v41, 1.0
	v_dual_fmac_f32 v41, v49, v41 :: v_dual_and_b32 v6, 0xffff0000, v6
	s_delay_alu instid0(VALU_DEP_1) | instskip(SKIP_1) | instid1(VALU_DEP_3)
	v_div_scale_f32 v27, null, s33, s33, v6
	v_div_scale_f32 v28, s3, v6, s33, v6
	v_mul_f32_e32 v49, v30, v41
	s_delay_alu instid0(VALU_DEP_3) | instskip(NEXT) | instid1(VALU_DEP_1)
	v_rcp_f32_e32 v40, v27
	v_fma_f32 v57, -v29, v49, v30
	s_delay_alu instid0(VALU_DEP_1) | instskip(NEXT) | instid1(TRANS32_DEP_1)
	v_fmac_f32_e32 v49, v57, v41
	v_fma_f32 v48, -v27, v40, 1.0
	s_delay_alu instid0(VALU_DEP_1) | instskip(NEXT) | instid1(VALU_DEP_1)
	v_dual_fmac_f32 v40, v48, v40 :: v_dual_and_b32 v5, 0xffff0000, v5
	v_div_scale_f32 v23, null, s33, s33, v5
	v_div_scale_f32 v24, s1, v5, s33, v5
	s_delay_alu instid0(VALU_DEP_3) | instskip(NEXT) | instid1(VALU_DEP_3)
	v_mul_f32_e32 v48, v28, v40
	v_rcp_f32_e32 v38, v23
	s_delay_alu instid0(VALU_DEP_1) | instskip(NEXT) | instid1(VALU_DEP_1)
	v_fma_f32 v56, -v27, v48, v28
	v_fmac_f32_e32 v48, v56, v40
	s_delay_alu instid0(TRANS32_DEP_1) | instskip(NEXT) | instid1(VALU_DEP_1)
	v_fma_f32 v46, -v23, v38, 1.0
	v_fmac_f32_e32 v38, v46, v38
	v_div_scale_f32 v21, null, s33, s33, v17
	v_div_scale_f32 v22, vcc_lo, v17, s33, v17
	s_delay_alu instid0(VALU_DEP_3) | instskip(NEXT) | instid1(VALU_DEP_3)
	v_mul_f32_e32 v46, v24, v38
	v_rcp_f32_e32 v37, v21
	s_delay_alu instid0(VALU_DEP_1) | instskip(NEXT) | instid1(VALU_DEP_1)
	v_fma_f32 v54, -v23, v46, v24
	v_fmac_f32_e32 v46, v54, v38
	s_delay_alu instid0(TRANS32_DEP_1) | instskip(NEXT) | instid1(VALU_DEP_1)
	v_fma_f32 v45, -v21, v37, 1.0
	v_dual_fmac_f32 v37, v45, v37 :: v_dual_add_nc_u32 v0, s10, v0
	s_delay_alu instid0(VALU_DEP_1) | instskip(NEXT) | instid1(VALU_DEP_2)
	v_cmp_le_i32_e64 s0, s8, v0
	v_mul_f32_e32 v45, v22, v37
	v_div_scale_f32 v36, s7, v8, s33, v8
	s_or_b32 s9, s0, s9
	v_fma_f32 v53, -v21, v45, v22
	s_delay_alu instid0(VALU_DEP_1) | instskip(NEXT) | instid1(VALU_DEP_1)
	v_dual_mul_f32 v52, v36, v44 :: v_dual_fmac_f32 v45, v53, v37
	v_fma_f32 v60, -v35, v52, v36
	s_delay_alu instid0(VALU_DEP_2)
	v_fma_f32 v21, -v21, v45, v22
	v_fma_f32 v22, -v23, v46, v24
	;; [unrolled: 1-line block ×5, first 2 shown]
	s_wait_alu 0xfffd
	v_div_fmas_f32 v21, v21, v37, v45
	s_mov_b32 vcc_lo, s1
	v_fma_f32 v26, -v31, v50, v32
	s_wait_alu 0xfffe
	v_div_fmas_f32 v22, v22, v38, v46
	s_mov_b32 vcc_lo, s2
	v_div_fixup_f32 v17, v21, s33, v17
	s_wait_alu 0xfffe
	v_div_fmas_f32 v23, v23, v39, v47
	s_mov_b32 vcc_lo, s3
	v_fma_f32 v27, -v33, v51, v34
	s_wait_alu 0xfffe
	v_div_fmas_f32 v21, v24, v40, v48
	v_cmp_nlg_f32_e64 s1, 0x7f800000, |v17|
	v_div_fixup_f32 v18, v23, s33, v18
	v_med3_num_f32 v23, v17, s13, 0xc3e00000
	s_mov_b32 vcc_lo, s4
	v_div_fixup_f32 v5, v22, s33, v5
	s_wait_alu 0xfffe
	v_div_fmas_f32 v22, v25, v41, v49
	s_mov_b32 vcc_lo, s5
	v_cndmask_b32_e64 v17, v23, v17, s1
	s_wait_alu 0xfffe
	v_div_fmas_f32 v24, v26, v42, v50
	s_mov_b32 vcc_lo, s6
	v_div_fixup_f32 v6, v21, s33, v6
	v_med3_num_f32 v21, v5, s13, 0xc3e00000
	v_cvt_pk_fp8_f32 v9, v17, v17
	v_fmac_f32_e32 v52, v60, v44
	v_cmp_nlg_f32_e64 s2, 0x7f800000, |v5|
	s_wait_alu 0xfffe
	v_div_fmas_f32 v25, v27, v43, v51
	s_mov_b32 vcc_lo, s7
	v_and_b32_e32 v9, 0xff, v9
	v_fma_f32 v28, -v35, v52, v36
	v_div_fixup_f32 v19, v22, s33, v19
	v_med3_num_f32 v22, v18, s13, 0xc3e00000
	v_cmp_nlg_f32_e64 s3, 0x7f800000, |v18|
	v_div_fixup_f32 v7, v24, s33, v7
	s_wait_alu 0xfffe
	v_div_fmas_f32 v26, v28, v44, v52
	v_med3_num_f32 v23, v6, s13, 0xc3e00000
	v_cmp_nlg_f32_e64 vcc_lo, 0x7f800000, |v6|
	v_cndmask_b32_e64 v5, v21, v5, s2
	v_div_fixup_f32 v20, v25, s33, v20
	v_med3_num_f32 v21, v19, s13, 0xc3e00000
	v_cmp_nlg_f32_e64 s1, 0x7f800000, |v19|
	s_wait_alu 0xf1ff
	v_cndmask_b32_e64 v18, v22, v18, s3
	v_div_fixup_f32 v8, v26, s33, v8
	v_med3_num_f32 v17, v7, s13, 0xc3e00000
	v_cmp_nlg_f32_e64 s2, 0x7f800000, |v7|
	v_cvt_pk_fp8_f32 v10, v5, v5
	v_med3_num_f32 v5, v20, s13, 0xc3e00000
	s_wait_alu 0xfffd
	v_cndmask_b32_e32 v6, v23, v6, vcc_lo
	v_cmp_nlg_f32_e64 vcc_lo, 0x7f800000, |v20|
	v_cndmask_b32_e64 v19, v21, v19, s1
	v_cvt_pk_fp8_f32 v11, v18, v18
	v_med3_num_f32 v18, v8, s13, 0xc3e00000
	v_cmp_nlg_f32_e64 s1, 0x7f800000, |v8|
	s_wait_alu 0xf1ff
	v_cndmask_b32_e64 v7, v17, v7, s2
	s_wait_alu 0xfffd
	v_cndmask_b32_e32 v5, v5, v20, vcc_lo
	v_cvt_pk_fp8_f32 v12, v6, v6
	v_lshlrev_b32_e32 v6, 8, v10
	v_cndmask_b32_e64 v8, v18, v8, s1
	v_lshlrev_b32_e32 v10, 16, v11
	v_cvt_pk_fp8_f32 v14, v7, v7
	v_cvt_pk_fp8_f32 v15, v5, v5
	v_and_b32_e32 v5, 0xff00, v6
	v_cvt_pk_fp8_f32 v16, v8, v8
	v_perm_b32 v7, v12, v10, 0x4020c0c
	v_and_b32_e32 v8, 0xff, v14
	v_and_b32_e32 v10, 0xff, v15
	v_cvt_pk_fp8_f32 v13, v19, v19
	v_lshlrev_b32_e32 v11, 24, v16
	v_or3_b32 v5, v7, v5, v9
	v_lshlrev_b32_e32 v7, 8, v8
	v_lshlrev_b32_e32 v8, 16, v10
	v_and_b32_e32 v6, 0xff, v13
	s_delay_alu instid0(VALU_DEP_2) | instskip(NEXT) | instid1(VALU_DEP_1)
	v_or_b32_e32 v8, v11, v8
	v_or3_b32 v6, v8, v7, v6
	global_store_b64 v[1:2], v[5:6], off
	v_add_co_u32 v1, vcc_lo, v1, s11
	s_wait_alu 0xfffd
	v_add_co_ci_u32_e64 v2, null, 0, v2, vcc_lo
	s_and_not1_b32 exec_lo, exec_lo, s9
	s_cbranch_execnz .LBB19_70
.LBB19_71:
	s_endpgm
.LBB19_72:
                                        ; implicit-def: $sgpr8_sgpr9
	s_load_b256 s[12:19], s[0:1], 0x0
	s_branch .LBB19_3
	.section	.rodata,"a",@progbits
	.p2align	6, 0x0
	.amdhsa_kernel _ZN4vllm30reshape_and_cache_flash_kernelI14__hip_bfloat16hLNS_18Fp8KVCacheDataTypeE1EEEvPKT_S5_PT0_S7_PKlllllliiiPKfSB_
		.amdhsa_group_segment_fixed_size 0
		.amdhsa_private_segment_fixed_size 0
		.amdhsa_kernarg_size 368
		.amdhsa_user_sgpr_count 2
		.amdhsa_user_sgpr_dispatch_ptr 0
		.amdhsa_user_sgpr_queue_ptr 0
		.amdhsa_user_sgpr_kernarg_segment_ptr 1
		.amdhsa_user_sgpr_dispatch_id 0
		.amdhsa_user_sgpr_private_segment_size 0
		.amdhsa_wavefront_size32 1
		.amdhsa_uses_dynamic_stack 0
		.amdhsa_enable_private_segment 0
		.amdhsa_system_sgpr_workgroup_id_x 1
		.amdhsa_system_sgpr_workgroup_id_y 0
		.amdhsa_system_sgpr_workgroup_id_z 0
		.amdhsa_system_sgpr_workgroup_info 0
		.amdhsa_system_vgpr_workitem_id 0
		.amdhsa_next_free_vgpr 91
		.amdhsa_next_free_sgpr 53
		.amdhsa_reserve_vcc 1
		.amdhsa_float_round_mode_32 0
		.amdhsa_float_round_mode_16_64 0
		.amdhsa_float_denorm_mode_32 3
		.amdhsa_float_denorm_mode_16_64 3
		.amdhsa_fp16_overflow 0
		.amdhsa_workgroup_processor_mode 1
		.amdhsa_memory_ordered 1
		.amdhsa_forward_progress 1
		.amdhsa_inst_pref_size 128
		.amdhsa_round_robin_scheduling 0
		.amdhsa_exception_fp_ieee_invalid_op 0
		.amdhsa_exception_fp_denorm_src 0
		.amdhsa_exception_fp_ieee_div_zero 0
		.amdhsa_exception_fp_ieee_overflow 0
		.amdhsa_exception_fp_ieee_underflow 0
		.amdhsa_exception_fp_ieee_inexact 0
		.amdhsa_exception_int_div_zero 0
	.end_amdhsa_kernel
	.section	.text._ZN4vllm30reshape_and_cache_flash_kernelI14__hip_bfloat16hLNS_18Fp8KVCacheDataTypeE1EEEvPKT_S5_PT0_S7_PKlllllliiiPKfSB_,"axG",@progbits,_ZN4vllm30reshape_and_cache_flash_kernelI14__hip_bfloat16hLNS_18Fp8KVCacheDataTypeE1EEEvPKT_S5_PT0_S7_PKlllllliiiPKfSB_,comdat
.Lfunc_end19:
	.size	_ZN4vllm30reshape_and_cache_flash_kernelI14__hip_bfloat16hLNS_18Fp8KVCacheDataTypeE1EEEvPKT_S5_PT0_S7_PKlllllliiiPKfSB_, .Lfunc_end19-_ZN4vllm30reshape_and_cache_flash_kernelI14__hip_bfloat16hLNS_18Fp8KVCacheDataTypeE1EEEvPKT_S5_PT0_S7_PKlllllliiiPKfSB_
                                        ; -- End function
	.set _ZN4vllm30reshape_and_cache_flash_kernelI14__hip_bfloat16hLNS_18Fp8KVCacheDataTypeE1EEEvPKT_S5_PT0_S7_PKlllllliiiPKfSB_.num_vgpr, 91
	.set _ZN4vllm30reshape_and_cache_flash_kernelI14__hip_bfloat16hLNS_18Fp8KVCacheDataTypeE1EEEvPKT_S5_PT0_S7_PKlllllliiiPKfSB_.num_agpr, 0
	.set _ZN4vllm30reshape_and_cache_flash_kernelI14__hip_bfloat16hLNS_18Fp8KVCacheDataTypeE1EEEvPKT_S5_PT0_S7_PKlllllliiiPKfSB_.numbered_sgpr, 53
	.set _ZN4vllm30reshape_and_cache_flash_kernelI14__hip_bfloat16hLNS_18Fp8KVCacheDataTypeE1EEEvPKT_S5_PT0_S7_PKlllllliiiPKfSB_.num_named_barrier, 0
	.set _ZN4vllm30reshape_and_cache_flash_kernelI14__hip_bfloat16hLNS_18Fp8KVCacheDataTypeE1EEEvPKT_S5_PT0_S7_PKlllllliiiPKfSB_.private_seg_size, 0
	.set _ZN4vllm30reshape_and_cache_flash_kernelI14__hip_bfloat16hLNS_18Fp8KVCacheDataTypeE1EEEvPKT_S5_PT0_S7_PKlllllliiiPKfSB_.uses_vcc, 1
	.set _ZN4vllm30reshape_and_cache_flash_kernelI14__hip_bfloat16hLNS_18Fp8KVCacheDataTypeE1EEEvPKT_S5_PT0_S7_PKlllllliiiPKfSB_.uses_flat_scratch, 0
	.set _ZN4vllm30reshape_and_cache_flash_kernelI14__hip_bfloat16hLNS_18Fp8KVCacheDataTypeE1EEEvPKT_S5_PT0_S7_PKlllllliiiPKfSB_.has_dyn_sized_stack, 0
	.set _ZN4vllm30reshape_and_cache_flash_kernelI14__hip_bfloat16hLNS_18Fp8KVCacheDataTypeE1EEEvPKT_S5_PT0_S7_PKlllllliiiPKfSB_.has_recursion, 0
	.set _ZN4vllm30reshape_and_cache_flash_kernelI14__hip_bfloat16hLNS_18Fp8KVCacheDataTypeE1EEEvPKT_S5_PT0_S7_PKlllllliiiPKfSB_.has_indirect_call, 0
	.section	.AMDGPU.csdata,"",@progbits
; Kernel info:
; codeLenInByte = 16312
; TotalNumSgprs: 55
; NumVgprs: 91
; ScratchSize: 0
; MemoryBound: 0
; FloatMode: 240
; IeeeMode: 1
; LDSByteSize: 0 bytes/workgroup (compile time only)
; SGPRBlocks: 0
; VGPRBlocks: 11
; NumSGPRsForWavesPerEU: 55
; NumVGPRsForWavesPerEU: 91
; Occupancy: 16
; WaveLimiterHint : 1
; COMPUTE_PGM_RSRC2:SCRATCH_EN: 0
; COMPUTE_PGM_RSRC2:USER_SGPR: 2
; COMPUTE_PGM_RSRC2:TRAP_HANDLER: 0
; COMPUTE_PGM_RSRC2:TGID_X_EN: 1
; COMPUTE_PGM_RSRC2:TGID_Y_EN: 0
; COMPUTE_PGM_RSRC2:TGID_Z_EN: 0
; COMPUTE_PGM_RSRC2:TIDIG_COMP_CNT: 0
	.section	.text._ZN4vllm27concat_and_cache_mla_kernelIffLNS_18Fp8KVCacheDataTypeE0EEEvPKT_S4_PT0_PKliiiiiiiPKf,"axG",@progbits,_ZN4vllm27concat_and_cache_mla_kernelIffLNS_18Fp8KVCacheDataTypeE0EEEvPKT_S4_PT0_PKliiiiiiiPKf,comdat
	.protected	_ZN4vllm27concat_and_cache_mla_kernelIffLNS_18Fp8KVCacheDataTypeE0EEEvPKT_S4_PT0_PKliiiiiiiPKf ; -- Begin function _ZN4vllm27concat_and_cache_mla_kernelIffLNS_18Fp8KVCacheDataTypeE0EEEvPKT_S4_PT0_PKliiiiiiiPKf
	.globl	_ZN4vllm27concat_and_cache_mla_kernelIffLNS_18Fp8KVCacheDataTypeE0EEEvPKT_S4_PT0_PKliiiiiiiPKf
	.p2align	8
	.type	_ZN4vllm27concat_and_cache_mla_kernelIffLNS_18Fp8KVCacheDataTypeE0EEEvPKT_S4_PT0_PKliiiiiiiPKf,@function
_ZN4vllm27concat_and_cache_mla_kernelIffLNS_18Fp8KVCacheDataTypeE0EEEvPKT_S4_PT0_PKliiiiiiiPKf: ; @_ZN4vllm27concat_and_cache_mla_kernelIffLNS_18Fp8KVCacheDataTypeE0EEEvPKT_S4_PT0_PKliiiiiiiPKf
; %bb.0:
	s_load_b64 s[2:3], s[0:1], 0x18
	s_mov_b32 s12, ttmp9
	s_mov_b32 s13, 0
	s_delay_alu instid0(SALU_CYCLE_1)
	s_lshl_b64 s[4:5], s[12:13], 3
	s_wait_kmcnt 0x0
	s_add_nc_u64 s[2:3], s[2:3], s[4:5]
	s_load_b64 s[2:3], s[2:3], 0x0
	s_wait_kmcnt 0x0
	v_cmp_lt_i64_e64 s4, s[2:3], 0
	s_and_b32 vcc_lo, exec_lo, s4
	s_cbranch_vccnz .LBB20_10
; %bb.1:
	s_clause 0x1
	s_load_b96 s[8:10], s[0:1], 0x30
	s_load_b128 s[4:7], s[0:1], 0x20
	s_wait_kmcnt 0x0
	s_ashr_i32 s11, s10, 31
	s_delay_alu instid0(SALU_CYCLE_1) | instskip(SKIP_1) | instid1(SALU_CYCLE_1)
	s_or_b64 s[14:15], s[2:3], s[10:11]
	s_mov_b32 s14, s13
	s_cmp_lg_u64 s[14:15], 0
	s_cbranch_scc0 .LBB20_11
; %bb.2:
	s_ashr_i32 s14, s11, 31
	s_delay_alu instid0(SALU_CYCLE_1) | instskip(NEXT) | instid1(SALU_CYCLE_1)
	s_mov_b32 s15, s14
	s_add_nc_u64 s[16:17], s[10:11], s[14:15]
	s_delay_alu instid0(SALU_CYCLE_1) | instskip(NEXT) | instid1(SALU_CYCLE_1)
	s_xor_b64 s[16:17], s[16:17], s[14:15]
	s_cvt_f32_u32 s18, s16
	s_cvt_f32_u32 s19, s17
	s_sub_nc_u64 s[22:23], 0, s[16:17]
	s_delay_alu instid0(SALU_CYCLE_2) | instskip(NEXT) | instid1(SALU_CYCLE_3)
	s_fmamk_f32 s18, s19, 0x4f800000, s18
	v_s_rcp_f32 s18, s18
	s_delay_alu instid0(TRANS32_DEP_1) | instskip(SKIP_1) | instid1(SALU_CYCLE_2)
	s_mul_f32 s18, s18, 0x5f7ffffc
	s_wait_alu 0xfffe
	s_mul_f32 s19, s18, 0x2f800000
	s_wait_alu 0xfffe
	s_delay_alu instid0(SALU_CYCLE_2) | instskip(SKIP_1) | instid1(SALU_CYCLE_2)
	s_trunc_f32 s19, s19
	s_wait_alu 0xfffe
	s_fmamk_f32 s18, s19, 0xcf800000, s18
	s_cvt_u32_f32 s21, s19
	s_mov_b32 s19, 0
	s_wait_alu 0xfffe
	s_cvt_u32_f32 s20, s18
	s_delay_alu instid0(SALU_CYCLE_3) | instskip(NEXT) | instid1(SALU_CYCLE_1)
	s_mul_u64 s[24:25], s[22:23], s[20:21]
	s_mul_hi_u32 s27, s20, s25
	s_mul_i32 s26, s20, s25
	s_mul_hi_u32 s18, s20, s24
	s_mul_i32 s29, s21, s24
	s_wait_alu 0xfffe
	s_add_nc_u64 s[26:27], s[18:19], s[26:27]
	s_mul_hi_u32 s28, s21, s24
	s_mul_hi_u32 s30, s21, s25
	s_add_co_u32 s18, s26, s29
	s_add_co_ci_u32 s18, s27, s28
	s_mul_i32 s24, s21, s25
	s_add_co_ci_u32 s25, s30, 0
	s_wait_alu 0xfffe
	s_add_nc_u64 s[24:25], s[18:19], s[24:25]
	s_delay_alu instid0(SALU_CYCLE_1) | instskip(SKIP_4) | instid1(SALU_CYCLE_1)
	s_add_co_u32 s20, s20, s24
	s_cselect_b32 s18, -1, 0
	s_wait_alu 0xfffe
	s_cmp_lg_u32 s18, 0
	s_add_co_ci_u32 s21, s21, s25
	s_mul_u64 s[22:23], s[22:23], s[20:21]
	s_delay_alu instid0(SALU_CYCLE_1)
	s_mul_hi_u32 s25, s20, s23
	s_mul_i32 s24, s20, s23
	s_mul_hi_u32 s18, s20, s22
	s_mul_i32 s27, s21, s22
	s_wait_alu 0xfffe
	s_add_nc_u64 s[24:25], s[18:19], s[24:25]
	s_mul_hi_u32 s26, s21, s22
	s_mul_hi_u32 s28, s21, s23
	s_add_co_u32 s18, s24, s27
	s_add_co_ci_u32 s18, s25, s26
	s_mul_i32 s22, s21, s23
	s_add_co_ci_u32 s23, s28, 0
	s_wait_alu 0xfffe
	s_add_nc_u64 s[22:23], s[18:19], s[22:23]
	s_delay_alu instid0(SALU_CYCLE_1)
	s_add_co_u32 s26, s20, s22
	s_cselect_b32 s18, -1, 0
	s_wait_alu 0xfffe
	s_cmp_lg_u32 s18, 0
	s_add_co_ci_u32 s27, s21, s23
	s_ashr_i32 s20, s3, 31
	s_delay_alu instid0(SALU_CYCLE_1) | instskip(NEXT) | instid1(SALU_CYCLE_1)
	s_mov_b32 s21, s20
	s_add_nc_u64 s[22:23], s[2:3], s[20:21]
	s_delay_alu instid0(SALU_CYCLE_1) | instskip(NEXT) | instid1(SALU_CYCLE_1)
	s_xor_b64 s[22:23], s[22:23], s[20:21]
	s_mul_hi_u32 s25, s22, s27
	s_mul_i32 s24, s22, s27
	s_mul_hi_u32 s18, s22, s26
	s_mul_i32 s30, s23, s26
	s_wait_alu 0xfffe
	s_add_nc_u64 s[24:25], s[18:19], s[24:25]
	s_mul_hi_u32 s29, s23, s26
	s_mul_hi_u32 s28, s23, s27
	s_add_co_u32 s18, s24, s30
	s_add_co_ci_u32 s18, s25, s29
	s_mul_i32 s26, s23, s27
	s_add_co_ci_u32 s27, s28, 0
	s_wait_alu 0xfffe
	s_add_nc_u64 s[24:25], s[18:19], s[26:27]
	s_delay_alu instid0(SALU_CYCLE_1) | instskip(NEXT) | instid1(SALU_CYCLE_1)
	s_mul_u64 s[26:27], s[16:17], s[24:25]
	s_sub_co_u32 s18, s22, s26
	s_cselect_b32 s22, -1, 0
	s_sub_co_i32 s26, s23, s27
	s_cmp_lg_u32 s22, 0
	s_sub_co_ci_u32 s26, s26, s17
	s_wait_alu 0xfffe
	s_sub_co_u32 s28, s18, s16
	s_cselect_b32 s29, -1, 0
	s_delay_alu instid0(SALU_CYCLE_1) | instskip(SKIP_1) | instid1(SALU_CYCLE_1)
	s_cmp_lg_u32 s29, 0
	s_sub_co_ci_u32 s26, s26, 0
	s_cmp_ge_u32 s26, s17
	s_cselect_b32 s30, -1, 0
	s_cmp_ge_u32 s28, s16
	s_add_nc_u64 s[28:29], s[24:25], 1
	s_cselect_b32 s31, -1, 0
	s_cmp_eq_u32 s26, s17
	s_cselect_b32 s26, s31, s30
	s_add_nc_u64 s[30:31], s[24:25], 2
	s_cmp_lg_u32 s26, 0
	s_cselect_b32 s26, s30, s28
	s_cselect_b32 s28, s31, s29
	s_cmp_lg_u32 s22, 0
	s_sub_co_ci_u32 s22, s23, s27
	s_delay_alu instid0(SALU_CYCLE_1)
	s_cmp_ge_u32 s22, s17
	s_cselect_b32 s23, -1, 0
	s_cmp_ge_u32 s18, s16
	s_cselect_b32 s16, -1, 0
	s_cmp_eq_u32 s22, s17
	s_cselect_b32 s16, s16, s23
	s_delay_alu instid0(SALU_CYCLE_1) | instskip(SKIP_3) | instid1(SALU_CYCLE_1)
	s_cmp_lg_u32 s16, 0
	s_cselect_b32 s17, s28, s25
	s_cselect_b32 s16, s26, s24
	s_xor_b64 s[14:15], s[20:21], s[14:15]
	s_xor_b64 s[16:17], s[16:17], s[14:15]
	s_delay_alu instid0(SALU_CYCLE_1)
	s_sub_nc_u64 s[14:15], s[16:17], s[14:15]
	s_cbranch_execnz .LBB20_4
.LBB20_3:
	v_cvt_f32_u32_e32 v1, s10
	s_sub_co_i32 s15, 0, s10
	s_delay_alu instid0(VALU_DEP_1) | instskip(NEXT) | instid1(TRANS32_DEP_1)
	v_rcp_iflag_f32_e32 v1, v1
	v_mul_f32_e32 v1, 0x4f7ffffe, v1
	s_delay_alu instid0(VALU_DEP_1) | instskip(NEXT) | instid1(VALU_DEP_1)
	v_cvt_u32_f32_e32 v1, v1
	v_readfirstlane_b32 s14, v1
	s_mul_i32 s15, s15, s14
	s_delay_alu instid0(SALU_CYCLE_1) | instskip(NEXT) | instid1(SALU_CYCLE_1)
	s_mul_hi_u32 s15, s14, s15
	s_add_co_i32 s14, s14, s15
	s_delay_alu instid0(SALU_CYCLE_1) | instskip(NEXT) | instid1(SALU_CYCLE_1)
	s_mul_hi_u32 s14, s2, s14
	s_mul_i32 s15, s14, s10
	s_add_co_i32 s16, s14, 1
	s_sub_co_i32 s15, s2, s15
	s_delay_alu instid0(SALU_CYCLE_1)
	s_sub_co_i32 s17, s15, s10
	s_cmp_ge_u32 s15, s10
	s_cselect_b32 s14, s16, s14
	s_cselect_b32 s15, s17, s15
	s_add_co_i32 s16, s14, 1
	s_cmp_ge_u32 s15, s10
	s_mov_b32 s15, 0
	s_cselect_b32 s14, s16, s14
.LBB20_4:
	s_load_b64 s[16:17], s[0:1], 0x10
	s_mul_u64 s[10:11], s[14:15], s[10:11]
	s_wait_alu 0xfffe
	s_sub_nc_u64 s[10:11], s[2:3], s[10:11]
	s_mov_b32 s3, exec_lo
	v_cmpx_gt_i32_e64 s8, v0
	s_cbranch_execz .LBB20_7
; %bb.5:
	s_clause 0x1
	s_load_b64 s[20:21], s[0:1], 0x0
	s_load_b32 s2, s[0:1], 0x54
	s_ashr_i32 s23, s4, 31
	s_mov_b32 s22, s4
	s_ashr_i32 s19, s6, 31
	s_mov_b32 s18, s6
	s_ashr_i32 s25, s5, 31
	s_mov_b32 s24, s5
	s_mul_u64 s[22:23], s[14:15], s[22:23]
	s_wait_alu 0xfffe
	s_mul_u64 s[18:19], s[18:19], s[12:13]
	s_mul_u64 s[24:25], s[10:11], s[24:25]
	s_lshl_b64 s[22:23], s[22:23], 2
	v_mov_b32_e32 v1, v0
	s_lshl_b64 s[24:25], s[24:25], 2
	s_wait_kmcnt 0x0
	s_add_nc_u64 s[22:23], s[16:17], s[22:23]
	s_wait_alu 0xfffe
	s_lshl_b64 s[26:27], s[18:19], 2
	s_add_nc_u64 s[18:19], s[22:23], s[24:25]
	s_mov_b32 s22, 0
	s_add_nc_u64 s[20:21], s[20:21], s[26:27]
	s_and_b32 s6, s2, 0xffff
.LBB20_6:                               ; =>This Inner Loop Header: Depth=1
	v_ashrrev_i32_e32 v2, 31, v1
	s_delay_alu instid0(VALU_DEP_1) | instskip(SKIP_1) | instid1(VALU_DEP_2)
	v_lshlrev_b64_e32 v[2:3], 2, v[1:2]
	v_add_nc_u32_e32 v1, s6, v1
	v_add_co_u32 v4, vcc_lo, s20, v2
	s_wait_alu 0xfffd
	s_delay_alu instid0(VALU_DEP_3) | instskip(NEXT) | instid1(VALU_DEP_3)
	v_add_co_ci_u32_e64 v5, null, s21, v3, vcc_lo
	v_cmp_le_i32_e32 vcc_lo, s8, v1
	s_wait_alu 0xfffe
	v_add_co_u32 v2, s2, s18, v2
	global_load_b32 v4, v[4:5], off
	s_wait_alu 0xf1ff
	v_add_co_ci_u32_e64 v3, null, s19, v3, s2
	s_or_b32 s22, vcc_lo, s22
	s_wait_loadcnt 0x0
	global_store_b32 v[2:3], v4, off
	s_and_not1_b32 exec_lo, exec_lo, s22
	s_cbranch_execnz .LBB20_6
.LBB20_7:
	s_wait_alu 0xfffe
	s_or_b32 exec_lo, exec_lo, s3
	s_load_b64 s[2:3], s[0:1], 0x8
	s_mov_b32 s6, exec_lo
	v_cmpx_gt_i32_e64 s9, v0
	s_cbranch_execz .LBB20_10
; %bb.8:
	s_load_b32 s20, s[0:1], 0x54
	s_ashr_i32 s1, s7, 31
	s_mov_b32 s0, s7
	s_ashr_i32 s7, s4, 31
	s_mov_b32 s6, s4
	;; [unrolled: 2-line block ×3, first 2 shown]
	s_wait_alu 0xfffe
	s_mul_u64 s[6:7], s[14:15], s[6:7]
	s_mul_u64 s[10:11], s[10:11], s[18:19]
	s_wait_alu 0xfffe
	s_lshl_b64 s[6:7], s[6:7], 2
	s_ashr_i32 s5, s8, 31
	s_mov_b32 s4, s8
	s_mul_u64 s[0:1], s[0:1], s[12:13]
	s_lshl_b64 s[10:11], s[10:11], 2
	s_wait_kmcnt 0x0
	s_wait_alu 0xfffe
	s_add_nc_u64 s[6:7], s[16:17], s[6:7]
	s_lshl_b64 s[4:5], s[4:5], 2
	s_lshl_b64 s[0:1], s[0:1], 2
	s_wait_alu 0xfffe
	s_add_nc_u64 s[6:7], s[6:7], s[10:11]
	s_add_nc_u64 s[2:3], s[2:3], s[0:1]
	s_wait_alu 0xfffe
	s_add_nc_u64 s[4:5], s[6:7], s[4:5]
	s_and_b32 s1, s20, 0xffff
	s_mov_b32 s6, 0
.LBB20_9:                               ; =>This Inner Loop Header: Depth=1
	v_ashrrev_i32_e32 v1, 31, v0
	s_delay_alu instid0(VALU_DEP_1) | instskip(SKIP_1) | instid1(VALU_DEP_2)
	v_lshlrev_b64_e32 v[1:2], 2, v[0:1]
	v_add_nc_u32_e32 v0, s1, v0
	v_add_co_u32 v3, vcc_lo, s2, v1
	s_wait_alu 0xfffd
	s_delay_alu instid0(VALU_DEP_3) | instskip(NEXT) | instid1(VALU_DEP_3)
	v_add_co_ci_u32_e64 v4, null, s3, v2, vcc_lo
	v_cmp_le_i32_e32 vcc_lo, s9, v0
	v_add_co_u32 v1, s0, s4, v1
	global_load_b32 v3, v[3:4], off
	s_wait_alu 0xf1ff
	v_add_co_ci_u32_e64 v2, null, s5, v2, s0
	s_wait_alu 0xfffe
	s_or_b32 s6, vcc_lo, s6
	s_wait_loadcnt 0x0
	global_store_b32 v[1:2], v3, off
	s_wait_alu 0xfffe
	s_and_not1_b32 exec_lo, exec_lo, s6
	s_cbranch_execnz .LBB20_9
.LBB20_10:
	s_endpgm
.LBB20_11:
                                        ; implicit-def: $sgpr14_sgpr15
	s_branch .LBB20_3
	.section	.rodata,"a",@progbits
	.p2align	6, 0x0
	.amdhsa_kernel _ZN4vllm27concat_and_cache_mla_kernelIffLNS_18Fp8KVCacheDataTypeE0EEEvPKT_S4_PT0_PKliiiiiiiPKf
		.amdhsa_group_segment_fixed_size 0
		.amdhsa_private_segment_fixed_size 0
		.amdhsa_kernarg_size 328
		.amdhsa_user_sgpr_count 2
		.amdhsa_user_sgpr_dispatch_ptr 0
		.amdhsa_user_sgpr_queue_ptr 0
		.amdhsa_user_sgpr_kernarg_segment_ptr 1
		.amdhsa_user_sgpr_dispatch_id 0
		.amdhsa_user_sgpr_private_segment_size 0
		.amdhsa_wavefront_size32 1
		.amdhsa_uses_dynamic_stack 0
		.amdhsa_enable_private_segment 0
		.amdhsa_system_sgpr_workgroup_id_x 1
		.amdhsa_system_sgpr_workgroup_id_y 0
		.amdhsa_system_sgpr_workgroup_id_z 0
		.amdhsa_system_sgpr_workgroup_info 0
		.amdhsa_system_vgpr_workitem_id 0
		.amdhsa_next_free_vgpr 6
		.amdhsa_next_free_sgpr 32
		.amdhsa_reserve_vcc 1
		.amdhsa_float_round_mode_32 0
		.amdhsa_float_round_mode_16_64 0
		.amdhsa_float_denorm_mode_32 3
		.amdhsa_float_denorm_mode_16_64 3
		.amdhsa_fp16_overflow 0
		.amdhsa_workgroup_processor_mode 1
		.amdhsa_memory_ordered 1
		.amdhsa_forward_progress 1
		.amdhsa_inst_pref_size 11
		.amdhsa_round_robin_scheduling 0
		.amdhsa_exception_fp_ieee_invalid_op 0
		.amdhsa_exception_fp_denorm_src 0
		.amdhsa_exception_fp_ieee_div_zero 0
		.amdhsa_exception_fp_ieee_overflow 0
		.amdhsa_exception_fp_ieee_underflow 0
		.amdhsa_exception_fp_ieee_inexact 0
		.amdhsa_exception_int_div_zero 0
	.end_amdhsa_kernel
	.section	.text._ZN4vllm27concat_and_cache_mla_kernelIffLNS_18Fp8KVCacheDataTypeE0EEEvPKT_S4_PT0_PKliiiiiiiPKf,"axG",@progbits,_ZN4vllm27concat_and_cache_mla_kernelIffLNS_18Fp8KVCacheDataTypeE0EEEvPKT_S4_PT0_PKliiiiiiiPKf,comdat
.Lfunc_end20:
	.size	_ZN4vllm27concat_and_cache_mla_kernelIffLNS_18Fp8KVCacheDataTypeE0EEEvPKT_S4_PT0_PKliiiiiiiPKf, .Lfunc_end20-_ZN4vllm27concat_and_cache_mla_kernelIffLNS_18Fp8KVCacheDataTypeE0EEEvPKT_S4_PT0_PKliiiiiiiPKf
                                        ; -- End function
	.set _ZN4vllm27concat_and_cache_mla_kernelIffLNS_18Fp8KVCacheDataTypeE0EEEvPKT_S4_PT0_PKliiiiiiiPKf.num_vgpr, 6
	.set _ZN4vllm27concat_and_cache_mla_kernelIffLNS_18Fp8KVCacheDataTypeE0EEEvPKT_S4_PT0_PKliiiiiiiPKf.num_agpr, 0
	.set _ZN4vllm27concat_and_cache_mla_kernelIffLNS_18Fp8KVCacheDataTypeE0EEEvPKT_S4_PT0_PKliiiiiiiPKf.numbered_sgpr, 32
	.set _ZN4vllm27concat_and_cache_mla_kernelIffLNS_18Fp8KVCacheDataTypeE0EEEvPKT_S4_PT0_PKliiiiiiiPKf.num_named_barrier, 0
	.set _ZN4vllm27concat_and_cache_mla_kernelIffLNS_18Fp8KVCacheDataTypeE0EEEvPKT_S4_PT0_PKliiiiiiiPKf.private_seg_size, 0
	.set _ZN4vllm27concat_and_cache_mla_kernelIffLNS_18Fp8KVCacheDataTypeE0EEEvPKT_S4_PT0_PKliiiiiiiPKf.uses_vcc, 1
	.set _ZN4vllm27concat_and_cache_mla_kernelIffLNS_18Fp8KVCacheDataTypeE0EEEvPKT_S4_PT0_PKliiiiiiiPKf.uses_flat_scratch, 0
	.set _ZN4vllm27concat_and_cache_mla_kernelIffLNS_18Fp8KVCacheDataTypeE0EEEvPKT_S4_PT0_PKliiiiiiiPKf.has_dyn_sized_stack, 0
	.set _ZN4vllm27concat_and_cache_mla_kernelIffLNS_18Fp8KVCacheDataTypeE0EEEvPKT_S4_PT0_PKliiiiiiiPKf.has_recursion, 0
	.set _ZN4vllm27concat_and_cache_mla_kernelIffLNS_18Fp8KVCacheDataTypeE0EEEvPKT_S4_PT0_PKliiiiiiiPKf.has_indirect_call, 0
	.section	.AMDGPU.csdata,"",@progbits
; Kernel info:
; codeLenInByte = 1284
; TotalNumSgprs: 34
; NumVgprs: 6
; ScratchSize: 0
; MemoryBound: 0
; FloatMode: 240
; IeeeMode: 1
; LDSByteSize: 0 bytes/workgroup (compile time only)
; SGPRBlocks: 0
; VGPRBlocks: 0
; NumSGPRsForWavesPerEU: 34
; NumVGPRsForWavesPerEU: 6
; Occupancy: 16
; WaveLimiterHint : 1
; COMPUTE_PGM_RSRC2:SCRATCH_EN: 0
; COMPUTE_PGM_RSRC2:USER_SGPR: 2
; COMPUTE_PGM_RSRC2:TRAP_HANDLER: 0
; COMPUTE_PGM_RSRC2:TGID_X_EN: 1
; COMPUTE_PGM_RSRC2:TGID_Y_EN: 0
; COMPUTE_PGM_RSRC2:TGID_Z_EN: 0
; COMPUTE_PGM_RSRC2:TIDIG_COMP_CNT: 0
	.section	.text._ZN4vllm27concat_and_cache_mla_kernelIttLNS_18Fp8KVCacheDataTypeE0EEEvPKT_S4_PT0_PKliiiiiiiPKf,"axG",@progbits,_ZN4vllm27concat_and_cache_mla_kernelIttLNS_18Fp8KVCacheDataTypeE0EEEvPKT_S4_PT0_PKliiiiiiiPKf,comdat
	.protected	_ZN4vllm27concat_and_cache_mla_kernelIttLNS_18Fp8KVCacheDataTypeE0EEEvPKT_S4_PT0_PKliiiiiiiPKf ; -- Begin function _ZN4vllm27concat_and_cache_mla_kernelIttLNS_18Fp8KVCacheDataTypeE0EEEvPKT_S4_PT0_PKliiiiiiiPKf
	.globl	_ZN4vllm27concat_and_cache_mla_kernelIttLNS_18Fp8KVCacheDataTypeE0EEEvPKT_S4_PT0_PKliiiiiiiPKf
	.p2align	8
	.type	_ZN4vllm27concat_and_cache_mla_kernelIttLNS_18Fp8KVCacheDataTypeE0EEEvPKT_S4_PT0_PKliiiiiiiPKf,@function
_ZN4vllm27concat_and_cache_mla_kernelIttLNS_18Fp8KVCacheDataTypeE0EEEvPKT_S4_PT0_PKliiiiiiiPKf: ; @_ZN4vllm27concat_and_cache_mla_kernelIttLNS_18Fp8KVCacheDataTypeE0EEEvPKT_S4_PT0_PKliiiiiiiPKf
; %bb.0:
	s_load_b64 s[2:3], s[0:1], 0x18
	s_mov_b32 s12, ttmp9
	s_mov_b32 s13, 0
	s_delay_alu instid0(SALU_CYCLE_1)
	s_lshl_b64 s[4:5], s[12:13], 3
	s_wait_kmcnt 0x0
	s_add_nc_u64 s[2:3], s[2:3], s[4:5]
	s_load_b64 s[2:3], s[2:3], 0x0
	s_wait_kmcnt 0x0
	v_cmp_lt_i64_e64 s4, s[2:3], 0
	s_and_b32 vcc_lo, exec_lo, s4
	s_cbranch_vccnz .LBB21_10
; %bb.1:
	s_clause 0x1
	s_load_b96 s[8:10], s[0:1], 0x30
	s_load_b128 s[4:7], s[0:1], 0x20
	s_wait_kmcnt 0x0
	s_ashr_i32 s11, s10, 31
	s_delay_alu instid0(SALU_CYCLE_1) | instskip(SKIP_1) | instid1(SALU_CYCLE_1)
	s_or_b64 s[14:15], s[2:3], s[10:11]
	s_mov_b32 s14, s13
	s_cmp_lg_u64 s[14:15], 0
	s_cbranch_scc0 .LBB21_11
; %bb.2:
	s_ashr_i32 s14, s11, 31
	s_delay_alu instid0(SALU_CYCLE_1) | instskip(NEXT) | instid1(SALU_CYCLE_1)
	s_mov_b32 s15, s14
	s_add_nc_u64 s[16:17], s[10:11], s[14:15]
	s_delay_alu instid0(SALU_CYCLE_1) | instskip(NEXT) | instid1(SALU_CYCLE_1)
	s_xor_b64 s[16:17], s[16:17], s[14:15]
	s_cvt_f32_u32 s18, s16
	s_cvt_f32_u32 s19, s17
	s_sub_nc_u64 s[22:23], 0, s[16:17]
	s_delay_alu instid0(SALU_CYCLE_2) | instskip(NEXT) | instid1(SALU_CYCLE_3)
	s_fmamk_f32 s18, s19, 0x4f800000, s18
	v_s_rcp_f32 s18, s18
	s_delay_alu instid0(TRANS32_DEP_1) | instskip(SKIP_1) | instid1(SALU_CYCLE_2)
	s_mul_f32 s18, s18, 0x5f7ffffc
	s_wait_alu 0xfffe
	s_mul_f32 s19, s18, 0x2f800000
	s_wait_alu 0xfffe
	s_delay_alu instid0(SALU_CYCLE_2) | instskip(SKIP_1) | instid1(SALU_CYCLE_2)
	s_trunc_f32 s19, s19
	s_wait_alu 0xfffe
	s_fmamk_f32 s18, s19, 0xcf800000, s18
	s_cvt_u32_f32 s21, s19
	s_mov_b32 s19, 0
	s_wait_alu 0xfffe
	s_cvt_u32_f32 s20, s18
	s_delay_alu instid0(SALU_CYCLE_3) | instskip(NEXT) | instid1(SALU_CYCLE_1)
	s_mul_u64 s[24:25], s[22:23], s[20:21]
	s_mul_hi_u32 s27, s20, s25
	s_mul_i32 s26, s20, s25
	s_mul_hi_u32 s18, s20, s24
	s_mul_i32 s29, s21, s24
	s_wait_alu 0xfffe
	s_add_nc_u64 s[26:27], s[18:19], s[26:27]
	s_mul_hi_u32 s28, s21, s24
	s_mul_hi_u32 s30, s21, s25
	s_add_co_u32 s18, s26, s29
	s_add_co_ci_u32 s18, s27, s28
	s_mul_i32 s24, s21, s25
	s_add_co_ci_u32 s25, s30, 0
	s_wait_alu 0xfffe
	s_add_nc_u64 s[24:25], s[18:19], s[24:25]
	s_delay_alu instid0(SALU_CYCLE_1) | instskip(SKIP_4) | instid1(SALU_CYCLE_1)
	s_add_co_u32 s20, s20, s24
	s_cselect_b32 s18, -1, 0
	s_wait_alu 0xfffe
	s_cmp_lg_u32 s18, 0
	s_add_co_ci_u32 s21, s21, s25
	s_mul_u64 s[22:23], s[22:23], s[20:21]
	s_delay_alu instid0(SALU_CYCLE_1)
	s_mul_hi_u32 s25, s20, s23
	s_mul_i32 s24, s20, s23
	s_mul_hi_u32 s18, s20, s22
	s_mul_i32 s27, s21, s22
	s_wait_alu 0xfffe
	s_add_nc_u64 s[24:25], s[18:19], s[24:25]
	s_mul_hi_u32 s26, s21, s22
	s_mul_hi_u32 s28, s21, s23
	s_add_co_u32 s18, s24, s27
	s_add_co_ci_u32 s18, s25, s26
	s_mul_i32 s22, s21, s23
	s_add_co_ci_u32 s23, s28, 0
	s_wait_alu 0xfffe
	s_add_nc_u64 s[22:23], s[18:19], s[22:23]
	s_delay_alu instid0(SALU_CYCLE_1)
	s_add_co_u32 s26, s20, s22
	s_cselect_b32 s18, -1, 0
	s_wait_alu 0xfffe
	s_cmp_lg_u32 s18, 0
	s_add_co_ci_u32 s27, s21, s23
	s_ashr_i32 s20, s3, 31
	s_delay_alu instid0(SALU_CYCLE_1) | instskip(NEXT) | instid1(SALU_CYCLE_1)
	s_mov_b32 s21, s20
	s_add_nc_u64 s[22:23], s[2:3], s[20:21]
	s_delay_alu instid0(SALU_CYCLE_1) | instskip(NEXT) | instid1(SALU_CYCLE_1)
	s_xor_b64 s[22:23], s[22:23], s[20:21]
	s_mul_hi_u32 s25, s22, s27
	s_mul_i32 s24, s22, s27
	s_mul_hi_u32 s18, s22, s26
	s_mul_i32 s30, s23, s26
	s_wait_alu 0xfffe
	s_add_nc_u64 s[24:25], s[18:19], s[24:25]
	s_mul_hi_u32 s29, s23, s26
	s_mul_hi_u32 s28, s23, s27
	s_add_co_u32 s18, s24, s30
	s_add_co_ci_u32 s18, s25, s29
	s_mul_i32 s26, s23, s27
	s_add_co_ci_u32 s27, s28, 0
	s_wait_alu 0xfffe
	s_add_nc_u64 s[24:25], s[18:19], s[26:27]
	s_delay_alu instid0(SALU_CYCLE_1) | instskip(NEXT) | instid1(SALU_CYCLE_1)
	s_mul_u64 s[26:27], s[16:17], s[24:25]
	s_sub_co_u32 s18, s22, s26
	s_cselect_b32 s22, -1, 0
	s_sub_co_i32 s26, s23, s27
	s_cmp_lg_u32 s22, 0
	s_sub_co_ci_u32 s26, s26, s17
	s_wait_alu 0xfffe
	s_sub_co_u32 s28, s18, s16
	s_cselect_b32 s29, -1, 0
	s_delay_alu instid0(SALU_CYCLE_1) | instskip(SKIP_1) | instid1(SALU_CYCLE_1)
	s_cmp_lg_u32 s29, 0
	s_sub_co_ci_u32 s26, s26, 0
	s_cmp_ge_u32 s26, s17
	s_cselect_b32 s30, -1, 0
	s_cmp_ge_u32 s28, s16
	s_add_nc_u64 s[28:29], s[24:25], 1
	s_cselect_b32 s31, -1, 0
	s_cmp_eq_u32 s26, s17
	s_cselect_b32 s26, s31, s30
	s_add_nc_u64 s[30:31], s[24:25], 2
	s_cmp_lg_u32 s26, 0
	s_cselect_b32 s26, s30, s28
	s_cselect_b32 s28, s31, s29
	s_cmp_lg_u32 s22, 0
	s_sub_co_ci_u32 s22, s23, s27
	s_delay_alu instid0(SALU_CYCLE_1)
	s_cmp_ge_u32 s22, s17
	s_cselect_b32 s23, -1, 0
	s_cmp_ge_u32 s18, s16
	s_cselect_b32 s16, -1, 0
	s_cmp_eq_u32 s22, s17
	s_cselect_b32 s16, s16, s23
	s_delay_alu instid0(SALU_CYCLE_1) | instskip(SKIP_3) | instid1(SALU_CYCLE_1)
	s_cmp_lg_u32 s16, 0
	s_cselect_b32 s17, s28, s25
	s_cselect_b32 s16, s26, s24
	s_xor_b64 s[14:15], s[20:21], s[14:15]
	s_xor_b64 s[16:17], s[16:17], s[14:15]
	s_delay_alu instid0(SALU_CYCLE_1)
	s_sub_nc_u64 s[14:15], s[16:17], s[14:15]
	s_cbranch_execnz .LBB21_4
.LBB21_3:
	v_cvt_f32_u32_e32 v1, s10
	s_sub_co_i32 s15, 0, s10
	s_delay_alu instid0(VALU_DEP_1) | instskip(NEXT) | instid1(TRANS32_DEP_1)
	v_rcp_iflag_f32_e32 v1, v1
	v_mul_f32_e32 v1, 0x4f7ffffe, v1
	s_delay_alu instid0(VALU_DEP_1) | instskip(NEXT) | instid1(VALU_DEP_1)
	v_cvt_u32_f32_e32 v1, v1
	v_readfirstlane_b32 s14, v1
	s_mul_i32 s15, s15, s14
	s_delay_alu instid0(SALU_CYCLE_1) | instskip(NEXT) | instid1(SALU_CYCLE_1)
	s_mul_hi_u32 s15, s14, s15
	s_add_co_i32 s14, s14, s15
	s_delay_alu instid0(SALU_CYCLE_1) | instskip(NEXT) | instid1(SALU_CYCLE_1)
	s_mul_hi_u32 s14, s2, s14
	s_mul_i32 s15, s14, s10
	s_add_co_i32 s16, s14, 1
	s_sub_co_i32 s15, s2, s15
	s_delay_alu instid0(SALU_CYCLE_1)
	s_sub_co_i32 s17, s15, s10
	s_cmp_ge_u32 s15, s10
	s_cselect_b32 s14, s16, s14
	s_cselect_b32 s15, s17, s15
	s_add_co_i32 s16, s14, 1
	s_cmp_ge_u32 s15, s10
	s_mov_b32 s15, 0
	s_cselect_b32 s14, s16, s14
.LBB21_4:
	s_load_b64 s[16:17], s[0:1], 0x10
	s_mul_u64 s[10:11], s[14:15], s[10:11]
	s_wait_alu 0xfffe
	s_sub_nc_u64 s[10:11], s[2:3], s[10:11]
	s_mov_b32 s3, exec_lo
	v_cmpx_gt_i32_e64 s8, v0
	s_cbranch_execz .LBB21_7
; %bb.5:
	s_clause 0x1
	s_load_b64 s[20:21], s[0:1], 0x0
	s_load_b32 s2, s[0:1], 0x54
	s_ashr_i32 s23, s4, 31
	s_mov_b32 s22, s4
	s_ashr_i32 s19, s6, 31
	s_mov_b32 s18, s6
	;; [unrolled: 2-line block ×3, first 2 shown]
	s_mul_u64 s[22:23], s[14:15], s[22:23]
	s_wait_alu 0xfffe
	s_mul_u64 s[18:19], s[18:19], s[12:13]
	s_mul_u64 s[24:25], s[10:11], s[24:25]
	s_lshl_b64 s[22:23], s[22:23], 1
	v_mov_b32_e32 v1, v0
	s_lshl_b64 s[24:25], s[24:25], 1
	s_wait_kmcnt 0x0
	s_add_nc_u64 s[22:23], s[16:17], s[22:23]
	s_wait_alu 0xfffe
	s_lshl_b64 s[26:27], s[18:19], 1
	s_add_nc_u64 s[18:19], s[22:23], s[24:25]
	s_mov_b32 s22, 0
	s_add_nc_u64 s[20:21], s[20:21], s[26:27]
	s_and_b32 s6, s2, 0xffff
.LBB21_6:                               ; =>This Inner Loop Header: Depth=1
	v_ashrrev_i32_e32 v2, 31, v1
	s_delay_alu instid0(VALU_DEP_1) | instskip(SKIP_1) | instid1(VALU_DEP_2)
	v_lshlrev_b64_e32 v[2:3], 1, v[1:2]
	v_add_nc_u32_e32 v1, s6, v1
	v_add_co_u32 v4, vcc_lo, s20, v2
	s_wait_alu 0xfffd
	s_delay_alu instid0(VALU_DEP_3) | instskip(NEXT) | instid1(VALU_DEP_3)
	v_add_co_ci_u32_e64 v5, null, s21, v3, vcc_lo
	v_cmp_le_i32_e32 vcc_lo, s8, v1
	s_wait_alu 0xfffe
	v_add_co_u32 v2, s2, s18, v2
	global_load_u16 v4, v[4:5], off
	s_wait_alu 0xf1ff
	v_add_co_ci_u32_e64 v3, null, s19, v3, s2
	s_or_b32 s22, vcc_lo, s22
	s_wait_loadcnt 0x0
	global_store_b16 v[2:3], v4, off
	s_and_not1_b32 exec_lo, exec_lo, s22
	s_cbranch_execnz .LBB21_6
.LBB21_7:
	s_wait_alu 0xfffe
	s_or_b32 exec_lo, exec_lo, s3
	s_load_b64 s[2:3], s[0:1], 0x8
	s_mov_b32 s6, exec_lo
	v_cmpx_gt_i32_e64 s9, v0
	s_cbranch_execz .LBB21_10
; %bb.8:
	s_load_b32 s20, s[0:1], 0x54
	s_ashr_i32 s1, s7, 31
	s_mov_b32 s0, s7
	s_ashr_i32 s7, s4, 31
	s_mov_b32 s6, s4
	;; [unrolled: 2-line block ×3, first 2 shown]
	s_wait_alu 0xfffe
	s_mul_u64 s[6:7], s[14:15], s[6:7]
	s_mul_u64 s[10:11], s[10:11], s[18:19]
	s_wait_alu 0xfffe
	s_lshl_b64 s[6:7], s[6:7], 1
	s_ashr_i32 s5, s8, 31
	s_mov_b32 s4, s8
	s_mul_u64 s[0:1], s[0:1], s[12:13]
	s_lshl_b64 s[10:11], s[10:11], 1
	s_wait_kmcnt 0x0
	s_wait_alu 0xfffe
	s_add_nc_u64 s[6:7], s[16:17], s[6:7]
	s_lshl_b64 s[4:5], s[4:5], 1
	s_lshl_b64 s[0:1], s[0:1], 1
	s_wait_alu 0xfffe
	s_add_nc_u64 s[6:7], s[6:7], s[10:11]
	s_add_nc_u64 s[2:3], s[2:3], s[0:1]
	s_wait_alu 0xfffe
	s_add_nc_u64 s[4:5], s[6:7], s[4:5]
	s_and_b32 s1, s20, 0xffff
	s_mov_b32 s6, 0
.LBB21_9:                               ; =>This Inner Loop Header: Depth=1
	v_ashrrev_i32_e32 v1, 31, v0
	s_delay_alu instid0(VALU_DEP_1) | instskip(SKIP_1) | instid1(VALU_DEP_2)
	v_lshlrev_b64_e32 v[1:2], 1, v[0:1]
	v_add_nc_u32_e32 v0, s1, v0
	v_add_co_u32 v3, vcc_lo, s2, v1
	s_wait_alu 0xfffd
	s_delay_alu instid0(VALU_DEP_3) | instskip(NEXT) | instid1(VALU_DEP_3)
	v_add_co_ci_u32_e64 v4, null, s3, v2, vcc_lo
	v_cmp_le_i32_e32 vcc_lo, s9, v0
	v_add_co_u32 v1, s0, s4, v1
	global_load_u16 v3, v[3:4], off
	s_wait_alu 0xf1ff
	v_add_co_ci_u32_e64 v2, null, s5, v2, s0
	s_wait_alu 0xfffe
	s_or_b32 s6, vcc_lo, s6
	s_wait_loadcnt 0x0
	global_store_b16 v[1:2], v3, off
	s_wait_alu 0xfffe
	s_and_not1_b32 exec_lo, exec_lo, s6
	s_cbranch_execnz .LBB21_9
.LBB21_10:
	s_endpgm
.LBB21_11:
                                        ; implicit-def: $sgpr14_sgpr15
	s_branch .LBB21_3
	.section	.rodata,"a",@progbits
	.p2align	6, 0x0
	.amdhsa_kernel _ZN4vllm27concat_and_cache_mla_kernelIttLNS_18Fp8KVCacheDataTypeE0EEEvPKT_S4_PT0_PKliiiiiiiPKf
		.amdhsa_group_segment_fixed_size 0
		.amdhsa_private_segment_fixed_size 0
		.amdhsa_kernarg_size 328
		.amdhsa_user_sgpr_count 2
		.amdhsa_user_sgpr_dispatch_ptr 0
		.amdhsa_user_sgpr_queue_ptr 0
		.amdhsa_user_sgpr_kernarg_segment_ptr 1
		.amdhsa_user_sgpr_dispatch_id 0
		.amdhsa_user_sgpr_private_segment_size 0
		.amdhsa_wavefront_size32 1
		.amdhsa_uses_dynamic_stack 0
		.amdhsa_enable_private_segment 0
		.amdhsa_system_sgpr_workgroup_id_x 1
		.amdhsa_system_sgpr_workgroup_id_y 0
		.amdhsa_system_sgpr_workgroup_id_z 0
		.amdhsa_system_sgpr_workgroup_info 0
		.amdhsa_system_vgpr_workitem_id 0
		.amdhsa_next_free_vgpr 6
		.amdhsa_next_free_sgpr 32
		.amdhsa_reserve_vcc 1
		.amdhsa_float_round_mode_32 0
		.amdhsa_float_round_mode_16_64 0
		.amdhsa_float_denorm_mode_32 3
		.amdhsa_float_denorm_mode_16_64 3
		.amdhsa_fp16_overflow 0
		.amdhsa_workgroup_processor_mode 1
		.amdhsa_memory_ordered 1
		.amdhsa_forward_progress 1
		.amdhsa_inst_pref_size 11
		.amdhsa_round_robin_scheduling 0
		.amdhsa_exception_fp_ieee_invalid_op 0
		.amdhsa_exception_fp_denorm_src 0
		.amdhsa_exception_fp_ieee_div_zero 0
		.amdhsa_exception_fp_ieee_overflow 0
		.amdhsa_exception_fp_ieee_underflow 0
		.amdhsa_exception_fp_ieee_inexact 0
		.amdhsa_exception_int_div_zero 0
	.end_amdhsa_kernel
	.section	.text._ZN4vllm27concat_and_cache_mla_kernelIttLNS_18Fp8KVCacheDataTypeE0EEEvPKT_S4_PT0_PKliiiiiiiPKf,"axG",@progbits,_ZN4vllm27concat_and_cache_mla_kernelIttLNS_18Fp8KVCacheDataTypeE0EEEvPKT_S4_PT0_PKliiiiiiiPKf,comdat
.Lfunc_end21:
	.size	_ZN4vllm27concat_and_cache_mla_kernelIttLNS_18Fp8KVCacheDataTypeE0EEEvPKT_S4_PT0_PKliiiiiiiPKf, .Lfunc_end21-_ZN4vllm27concat_and_cache_mla_kernelIttLNS_18Fp8KVCacheDataTypeE0EEEvPKT_S4_PT0_PKliiiiiiiPKf
                                        ; -- End function
	.set _ZN4vllm27concat_and_cache_mla_kernelIttLNS_18Fp8KVCacheDataTypeE0EEEvPKT_S4_PT0_PKliiiiiiiPKf.num_vgpr, 6
	.set _ZN4vllm27concat_and_cache_mla_kernelIttLNS_18Fp8KVCacheDataTypeE0EEEvPKT_S4_PT0_PKliiiiiiiPKf.num_agpr, 0
	.set _ZN4vllm27concat_and_cache_mla_kernelIttLNS_18Fp8KVCacheDataTypeE0EEEvPKT_S4_PT0_PKliiiiiiiPKf.numbered_sgpr, 32
	.set _ZN4vllm27concat_and_cache_mla_kernelIttLNS_18Fp8KVCacheDataTypeE0EEEvPKT_S4_PT0_PKliiiiiiiPKf.num_named_barrier, 0
	.set _ZN4vllm27concat_and_cache_mla_kernelIttLNS_18Fp8KVCacheDataTypeE0EEEvPKT_S4_PT0_PKliiiiiiiPKf.private_seg_size, 0
	.set _ZN4vllm27concat_and_cache_mla_kernelIttLNS_18Fp8KVCacheDataTypeE0EEEvPKT_S4_PT0_PKliiiiiiiPKf.uses_vcc, 1
	.set _ZN4vllm27concat_and_cache_mla_kernelIttLNS_18Fp8KVCacheDataTypeE0EEEvPKT_S4_PT0_PKliiiiiiiPKf.uses_flat_scratch, 0
	.set _ZN4vllm27concat_and_cache_mla_kernelIttLNS_18Fp8KVCacheDataTypeE0EEEvPKT_S4_PT0_PKliiiiiiiPKf.has_dyn_sized_stack, 0
	.set _ZN4vllm27concat_and_cache_mla_kernelIttLNS_18Fp8KVCacheDataTypeE0EEEvPKT_S4_PT0_PKliiiiiiiPKf.has_recursion, 0
	.set _ZN4vllm27concat_and_cache_mla_kernelIttLNS_18Fp8KVCacheDataTypeE0EEEvPKT_S4_PT0_PKliiiiiiiPKf.has_indirect_call, 0
	.section	.AMDGPU.csdata,"",@progbits
; Kernel info:
; codeLenInByte = 1284
; TotalNumSgprs: 34
; NumVgprs: 6
; ScratchSize: 0
; MemoryBound: 0
; FloatMode: 240
; IeeeMode: 1
; LDSByteSize: 0 bytes/workgroup (compile time only)
; SGPRBlocks: 0
; VGPRBlocks: 0
; NumSGPRsForWavesPerEU: 34
; NumVGPRsForWavesPerEU: 6
; Occupancy: 16
; WaveLimiterHint : 1
; COMPUTE_PGM_RSRC2:SCRATCH_EN: 0
; COMPUTE_PGM_RSRC2:USER_SGPR: 2
; COMPUTE_PGM_RSRC2:TRAP_HANDLER: 0
; COMPUTE_PGM_RSRC2:TGID_X_EN: 1
; COMPUTE_PGM_RSRC2:TGID_Y_EN: 0
; COMPUTE_PGM_RSRC2:TGID_Z_EN: 0
; COMPUTE_PGM_RSRC2:TIDIG_COMP_CNT: 0
	.section	.text._ZN4vllm27concat_and_cache_mla_kernelI14__hip_bfloat16S1_LNS_18Fp8KVCacheDataTypeE0EEEvPKT_S5_PT0_PKliiiiiiiPKf,"axG",@progbits,_ZN4vllm27concat_and_cache_mla_kernelI14__hip_bfloat16S1_LNS_18Fp8KVCacheDataTypeE0EEEvPKT_S5_PT0_PKliiiiiiiPKf,comdat
	.protected	_ZN4vllm27concat_and_cache_mla_kernelI14__hip_bfloat16S1_LNS_18Fp8KVCacheDataTypeE0EEEvPKT_S5_PT0_PKliiiiiiiPKf ; -- Begin function _ZN4vllm27concat_and_cache_mla_kernelI14__hip_bfloat16S1_LNS_18Fp8KVCacheDataTypeE0EEEvPKT_S5_PT0_PKliiiiiiiPKf
	.globl	_ZN4vllm27concat_and_cache_mla_kernelI14__hip_bfloat16S1_LNS_18Fp8KVCacheDataTypeE0EEEvPKT_S5_PT0_PKliiiiiiiPKf
	.p2align	8
	.type	_ZN4vllm27concat_and_cache_mla_kernelI14__hip_bfloat16S1_LNS_18Fp8KVCacheDataTypeE0EEEvPKT_S5_PT0_PKliiiiiiiPKf,@function
_ZN4vllm27concat_and_cache_mla_kernelI14__hip_bfloat16S1_LNS_18Fp8KVCacheDataTypeE0EEEvPKT_S5_PT0_PKliiiiiiiPKf: ; @_ZN4vllm27concat_and_cache_mla_kernelI14__hip_bfloat16S1_LNS_18Fp8KVCacheDataTypeE0EEEvPKT_S5_PT0_PKliiiiiiiPKf
; %bb.0:
	s_load_b64 s[2:3], s[0:1], 0x18
	s_mov_b32 s12, ttmp9
	s_mov_b32 s13, 0
	s_delay_alu instid0(SALU_CYCLE_1)
	s_lshl_b64 s[4:5], s[12:13], 3
	s_wait_kmcnt 0x0
	s_add_nc_u64 s[2:3], s[2:3], s[4:5]
	s_load_b64 s[2:3], s[2:3], 0x0
	s_wait_kmcnt 0x0
	v_cmp_lt_i64_e64 s4, s[2:3], 0
	s_and_b32 vcc_lo, exec_lo, s4
	s_cbranch_vccnz .LBB22_10
; %bb.1:
	s_clause 0x1
	s_load_b96 s[8:10], s[0:1], 0x30
	s_load_b128 s[4:7], s[0:1], 0x20
	s_wait_kmcnt 0x0
	s_ashr_i32 s11, s10, 31
	s_delay_alu instid0(SALU_CYCLE_1) | instskip(SKIP_1) | instid1(SALU_CYCLE_1)
	s_or_b64 s[14:15], s[2:3], s[10:11]
	s_mov_b32 s14, s13
	s_cmp_lg_u64 s[14:15], 0
	s_cbranch_scc0 .LBB22_11
; %bb.2:
	s_ashr_i32 s14, s11, 31
	s_delay_alu instid0(SALU_CYCLE_1) | instskip(NEXT) | instid1(SALU_CYCLE_1)
	s_mov_b32 s15, s14
	s_add_nc_u64 s[16:17], s[10:11], s[14:15]
	s_delay_alu instid0(SALU_CYCLE_1) | instskip(NEXT) | instid1(SALU_CYCLE_1)
	s_xor_b64 s[16:17], s[16:17], s[14:15]
	s_cvt_f32_u32 s18, s16
	s_cvt_f32_u32 s19, s17
	s_sub_nc_u64 s[22:23], 0, s[16:17]
	s_delay_alu instid0(SALU_CYCLE_2) | instskip(NEXT) | instid1(SALU_CYCLE_3)
	s_fmamk_f32 s18, s19, 0x4f800000, s18
	v_s_rcp_f32 s18, s18
	s_delay_alu instid0(TRANS32_DEP_1) | instskip(SKIP_1) | instid1(SALU_CYCLE_2)
	s_mul_f32 s18, s18, 0x5f7ffffc
	s_wait_alu 0xfffe
	s_mul_f32 s19, s18, 0x2f800000
	s_wait_alu 0xfffe
	s_delay_alu instid0(SALU_CYCLE_2) | instskip(SKIP_1) | instid1(SALU_CYCLE_2)
	s_trunc_f32 s19, s19
	s_wait_alu 0xfffe
	s_fmamk_f32 s18, s19, 0xcf800000, s18
	s_cvt_u32_f32 s21, s19
	s_mov_b32 s19, 0
	s_wait_alu 0xfffe
	s_cvt_u32_f32 s20, s18
	s_delay_alu instid0(SALU_CYCLE_3) | instskip(NEXT) | instid1(SALU_CYCLE_1)
	s_mul_u64 s[24:25], s[22:23], s[20:21]
	s_mul_hi_u32 s27, s20, s25
	s_mul_i32 s26, s20, s25
	s_mul_hi_u32 s18, s20, s24
	s_mul_i32 s29, s21, s24
	s_wait_alu 0xfffe
	s_add_nc_u64 s[26:27], s[18:19], s[26:27]
	s_mul_hi_u32 s28, s21, s24
	s_mul_hi_u32 s30, s21, s25
	s_add_co_u32 s18, s26, s29
	s_add_co_ci_u32 s18, s27, s28
	s_mul_i32 s24, s21, s25
	s_add_co_ci_u32 s25, s30, 0
	s_wait_alu 0xfffe
	s_add_nc_u64 s[24:25], s[18:19], s[24:25]
	s_delay_alu instid0(SALU_CYCLE_1) | instskip(SKIP_4) | instid1(SALU_CYCLE_1)
	s_add_co_u32 s20, s20, s24
	s_cselect_b32 s18, -1, 0
	s_wait_alu 0xfffe
	s_cmp_lg_u32 s18, 0
	s_add_co_ci_u32 s21, s21, s25
	s_mul_u64 s[22:23], s[22:23], s[20:21]
	s_delay_alu instid0(SALU_CYCLE_1)
	s_mul_hi_u32 s25, s20, s23
	s_mul_i32 s24, s20, s23
	s_mul_hi_u32 s18, s20, s22
	s_mul_i32 s27, s21, s22
	s_wait_alu 0xfffe
	s_add_nc_u64 s[24:25], s[18:19], s[24:25]
	s_mul_hi_u32 s26, s21, s22
	s_mul_hi_u32 s28, s21, s23
	s_add_co_u32 s18, s24, s27
	s_add_co_ci_u32 s18, s25, s26
	s_mul_i32 s22, s21, s23
	s_add_co_ci_u32 s23, s28, 0
	s_wait_alu 0xfffe
	s_add_nc_u64 s[22:23], s[18:19], s[22:23]
	s_delay_alu instid0(SALU_CYCLE_1)
	s_add_co_u32 s26, s20, s22
	s_cselect_b32 s18, -1, 0
	s_wait_alu 0xfffe
	s_cmp_lg_u32 s18, 0
	s_add_co_ci_u32 s27, s21, s23
	s_ashr_i32 s20, s3, 31
	s_delay_alu instid0(SALU_CYCLE_1) | instskip(NEXT) | instid1(SALU_CYCLE_1)
	s_mov_b32 s21, s20
	s_add_nc_u64 s[22:23], s[2:3], s[20:21]
	s_delay_alu instid0(SALU_CYCLE_1) | instskip(NEXT) | instid1(SALU_CYCLE_1)
	s_xor_b64 s[22:23], s[22:23], s[20:21]
	s_mul_hi_u32 s25, s22, s27
	s_mul_i32 s24, s22, s27
	s_mul_hi_u32 s18, s22, s26
	s_mul_i32 s30, s23, s26
	s_wait_alu 0xfffe
	s_add_nc_u64 s[24:25], s[18:19], s[24:25]
	s_mul_hi_u32 s29, s23, s26
	s_mul_hi_u32 s28, s23, s27
	s_add_co_u32 s18, s24, s30
	s_add_co_ci_u32 s18, s25, s29
	s_mul_i32 s26, s23, s27
	s_add_co_ci_u32 s27, s28, 0
	s_wait_alu 0xfffe
	s_add_nc_u64 s[24:25], s[18:19], s[26:27]
	s_delay_alu instid0(SALU_CYCLE_1) | instskip(NEXT) | instid1(SALU_CYCLE_1)
	s_mul_u64 s[26:27], s[16:17], s[24:25]
	s_sub_co_u32 s18, s22, s26
	s_cselect_b32 s22, -1, 0
	s_sub_co_i32 s26, s23, s27
	s_cmp_lg_u32 s22, 0
	s_sub_co_ci_u32 s26, s26, s17
	s_wait_alu 0xfffe
	s_sub_co_u32 s28, s18, s16
	s_cselect_b32 s29, -1, 0
	s_delay_alu instid0(SALU_CYCLE_1) | instskip(SKIP_1) | instid1(SALU_CYCLE_1)
	s_cmp_lg_u32 s29, 0
	s_sub_co_ci_u32 s26, s26, 0
	s_cmp_ge_u32 s26, s17
	s_cselect_b32 s30, -1, 0
	s_cmp_ge_u32 s28, s16
	s_add_nc_u64 s[28:29], s[24:25], 1
	s_cselect_b32 s31, -1, 0
	s_cmp_eq_u32 s26, s17
	s_cselect_b32 s26, s31, s30
	s_add_nc_u64 s[30:31], s[24:25], 2
	s_cmp_lg_u32 s26, 0
	s_cselect_b32 s26, s30, s28
	s_cselect_b32 s28, s31, s29
	s_cmp_lg_u32 s22, 0
	s_sub_co_ci_u32 s22, s23, s27
	s_delay_alu instid0(SALU_CYCLE_1)
	s_cmp_ge_u32 s22, s17
	s_cselect_b32 s23, -1, 0
	s_cmp_ge_u32 s18, s16
	s_cselect_b32 s16, -1, 0
	s_cmp_eq_u32 s22, s17
	s_cselect_b32 s16, s16, s23
	s_delay_alu instid0(SALU_CYCLE_1) | instskip(SKIP_3) | instid1(SALU_CYCLE_1)
	s_cmp_lg_u32 s16, 0
	s_cselect_b32 s17, s28, s25
	s_cselect_b32 s16, s26, s24
	s_xor_b64 s[14:15], s[20:21], s[14:15]
	s_xor_b64 s[16:17], s[16:17], s[14:15]
	s_delay_alu instid0(SALU_CYCLE_1)
	s_sub_nc_u64 s[14:15], s[16:17], s[14:15]
	s_cbranch_execnz .LBB22_4
.LBB22_3:
	v_cvt_f32_u32_e32 v1, s10
	s_sub_co_i32 s15, 0, s10
	s_delay_alu instid0(VALU_DEP_1) | instskip(NEXT) | instid1(TRANS32_DEP_1)
	v_rcp_iflag_f32_e32 v1, v1
	v_mul_f32_e32 v1, 0x4f7ffffe, v1
	s_delay_alu instid0(VALU_DEP_1) | instskip(NEXT) | instid1(VALU_DEP_1)
	v_cvt_u32_f32_e32 v1, v1
	v_readfirstlane_b32 s14, v1
	s_mul_i32 s15, s15, s14
	s_delay_alu instid0(SALU_CYCLE_1) | instskip(NEXT) | instid1(SALU_CYCLE_1)
	s_mul_hi_u32 s15, s14, s15
	s_add_co_i32 s14, s14, s15
	s_delay_alu instid0(SALU_CYCLE_1) | instskip(NEXT) | instid1(SALU_CYCLE_1)
	s_mul_hi_u32 s14, s2, s14
	s_mul_i32 s15, s14, s10
	s_add_co_i32 s16, s14, 1
	s_sub_co_i32 s15, s2, s15
	s_delay_alu instid0(SALU_CYCLE_1)
	s_sub_co_i32 s17, s15, s10
	s_cmp_ge_u32 s15, s10
	s_cselect_b32 s14, s16, s14
	s_cselect_b32 s15, s17, s15
	s_add_co_i32 s16, s14, 1
	s_cmp_ge_u32 s15, s10
	s_mov_b32 s15, 0
	s_cselect_b32 s14, s16, s14
.LBB22_4:
	s_load_b64 s[16:17], s[0:1], 0x10
	s_mul_u64 s[10:11], s[14:15], s[10:11]
	s_wait_alu 0xfffe
	s_sub_nc_u64 s[10:11], s[2:3], s[10:11]
	s_mov_b32 s3, exec_lo
	v_cmpx_gt_i32_e64 s8, v0
	s_cbranch_execz .LBB22_7
; %bb.5:
	s_clause 0x1
	s_load_b64 s[20:21], s[0:1], 0x0
	s_load_b32 s2, s[0:1], 0x54
	s_ashr_i32 s23, s4, 31
	s_mov_b32 s22, s4
	s_ashr_i32 s19, s6, 31
	s_mov_b32 s18, s6
	;; [unrolled: 2-line block ×3, first 2 shown]
	s_mul_u64 s[22:23], s[14:15], s[22:23]
	s_wait_alu 0xfffe
	s_mul_u64 s[18:19], s[18:19], s[12:13]
	s_mul_u64 s[24:25], s[10:11], s[24:25]
	s_lshl_b64 s[22:23], s[22:23], 1
	v_mov_b32_e32 v1, v0
	s_lshl_b64 s[24:25], s[24:25], 1
	s_wait_kmcnt 0x0
	s_add_nc_u64 s[22:23], s[16:17], s[22:23]
	s_wait_alu 0xfffe
	s_lshl_b64 s[26:27], s[18:19], 1
	s_add_nc_u64 s[18:19], s[22:23], s[24:25]
	s_mov_b32 s22, 0
	s_add_nc_u64 s[20:21], s[20:21], s[26:27]
	s_and_b32 s6, s2, 0xffff
.LBB22_6:                               ; =>This Inner Loop Header: Depth=1
	v_ashrrev_i32_e32 v2, 31, v1
	s_delay_alu instid0(VALU_DEP_1) | instskip(SKIP_1) | instid1(VALU_DEP_2)
	v_lshlrev_b64_e32 v[2:3], 1, v[1:2]
	v_add_nc_u32_e32 v1, s6, v1
	v_add_co_u32 v4, vcc_lo, s20, v2
	s_wait_alu 0xfffd
	s_delay_alu instid0(VALU_DEP_3) | instskip(NEXT) | instid1(VALU_DEP_3)
	v_add_co_ci_u32_e64 v5, null, s21, v3, vcc_lo
	v_cmp_le_i32_e32 vcc_lo, s8, v1
	s_wait_alu 0xfffe
	v_add_co_u32 v2, s2, s18, v2
	global_load_u16 v4, v[4:5], off
	s_wait_alu 0xf1ff
	v_add_co_ci_u32_e64 v3, null, s19, v3, s2
	s_or_b32 s22, vcc_lo, s22
	s_wait_loadcnt 0x0
	global_store_b16 v[2:3], v4, off
	s_and_not1_b32 exec_lo, exec_lo, s22
	s_cbranch_execnz .LBB22_6
.LBB22_7:
	s_wait_alu 0xfffe
	s_or_b32 exec_lo, exec_lo, s3
	s_load_b64 s[2:3], s[0:1], 0x8
	s_mov_b32 s6, exec_lo
	v_cmpx_gt_i32_e64 s9, v0
	s_cbranch_execz .LBB22_10
; %bb.8:
	s_load_b32 s20, s[0:1], 0x54
	s_ashr_i32 s1, s7, 31
	s_mov_b32 s0, s7
	s_ashr_i32 s7, s4, 31
	s_mov_b32 s6, s4
	;; [unrolled: 2-line block ×3, first 2 shown]
	s_wait_alu 0xfffe
	s_mul_u64 s[6:7], s[14:15], s[6:7]
	s_mul_u64 s[10:11], s[10:11], s[18:19]
	s_wait_alu 0xfffe
	s_lshl_b64 s[6:7], s[6:7], 1
	s_ashr_i32 s5, s8, 31
	s_mov_b32 s4, s8
	s_mul_u64 s[0:1], s[0:1], s[12:13]
	s_lshl_b64 s[10:11], s[10:11], 1
	s_wait_kmcnt 0x0
	s_wait_alu 0xfffe
	s_add_nc_u64 s[6:7], s[16:17], s[6:7]
	s_lshl_b64 s[4:5], s[4:5], 1
	s_lshl_b64 s[0:1], s[0:1], 1
	s_wait_alu 0xfffe
	s_add_nc_u64 s[6:7], s[6:7], s[10:11]
	s_add_nc_u64 s[2:3], s[2:3], s[0:1]
	s_wait_alu 0xfffe
	s_add_nc_u64 s[4:5], s[6:7], s[4:5]
	s_and_b32 s1, s20, 0xffff
	s_mov_b32 s6, 0
.LBB22_9:                               ; =>This Inner Loop Header: Depth=1
	v_ashrrev_i32_e32 v1, 31, v0
	s_delay_alu instid0(VALU_DEP_1) | instskip(SKIP_1) | instid1(VALU_DEP_2)
	v_lshlrev_b64_e32 v[1:2], 1, v[0:1]
	v_add_nc_u32_e32 v0, s1, v0
	v_add_co_u32 v3, vcc_lo, s2, v1
	s_wait_alu 0xfffd
	s_delay_alu instid0(VALU_DEP_3) | instskip(NEXT) | instid1(VALU_DEP_3)
	v_add_co_ci_u32_e64 v4, null, s3, v2, vcc_lo
	v_cmp_le_i32_e32 vcc_lo, s9, v0
	v_add_co_u32 v1, s0, s4, v1
	global_load_u16 v3, v[3:4], off
	s_wait_alu 0xf1ff
	v_add_co_ci_u32_e64 v2, null, s5, v2, s0
	s_wait_alu 0xfffe
	s_or_b32 s6, vcc_lo, s6
	s_wait_loadcnt 0x0
	global_store_b16 v[1:2], v3, off
	s_wait_alu 0xfffe
	s_and_not1_b32 exec_lo, exec_lo, s6
	s_cbranch_execnz .LBB22_9
.LBB22_10:
	s_endpgm
.LBB22_11:
                                        ; implicit-def: $sgpr14_sgpr15
	s_branch .LBB22_3
	.section	.rodata,"a",@progbits
	.p2align	6, 0x0
	.amdhsa_kernel _ZN4vllm27concat_and_cache_mla_kernelI14__hip_bfloat16S1_LNS_18Fp8KVCacheDataTypeE0EEEvPKT_S5_PT0_PKliiiiiiiPKf
		.amdhsa_group_segment_fixed_size 0
		.amdhsa_private_segment_fixed_size 0
		.amdhsa_kernarg_size 328
		.amdhsa_user_sgpr_count 2
		.amdhsa_user_sgpr_dispatch_ptr 0
		.amdhsa_user_sgpr_queue_ptr 0
		.amdhsa_user_sgpr_kernarg_segment_ptr 1
		.amdhsa_user_sgpr_dispatch_id 0
		.amdhsa_user_sgpr_private_segment_size 0
		.amdhsa_wavefront_size32 1
		.amdhsa_uses_dynamic_stack 0
		.amdhsa_enable_private_segment 0
		.amdhsa_system_sgpr_workgroup_id_x 1
		.amdhsa_system_sgpr_workgroup_id_y 0
		.amdhsa_system_sgpr_workgroup_id_z 0
		.amdhsa_system_sgpr_workgroup_info 0
		.amdhsa_system_vgpr_workitem_id 0
		.amdhsa_next_free_vgpr 6
		.amdhsa_next_free_sgpr 32
		.amdhsa_reserve_vcc 1
		.amdhsa_float_round_mode_32 0
		.amdhsa_float_round_mode_16_64 0
		.amdhsa_float_denorm_mode_32 3
		.amdhsa_float_denorm_mode_16_64 3
		.amdhsa_fp16_overflow 0
		.amdhsa_workgroup_processor_mode 1
		.amdhsa_memory_ordered 1
		.amdhsa_forward_progress 1
		.amdhsa_inst_pref_size 11
		.amdhsa_round_robin_scheduling 0
		.amdhsa_exception_fp_ieee_invalid_op 0
		.amdhsa_exception_fp_denorm_src 0
		.amdhsa_exception_fp_ieee_div_zero 0
		.amdhsa_exception_fp_ieee_overflow 0
		.amdhsa_exception_fp_ieee_underflow 0
		.amdhsa_exception_fp_ieee_inexact 0
		.amdhsa_exception_int_div_zero 0
	.end_amdhsa_kernel
	.section	.text._ZN4vllm27concat_and_cache_mla_kernelI14__hip_bfloat16S1_LNS_18Fp8KVCacheDataTypeE0EEEvPKT_S5_PT0_PKliiiiiiiPKf,"axG",@progbits,_ZN4vllm27concat_and_cache_mla_kernelI14__hip_bfloat16S1_LNS_18Fp8KVCacheDataTypeE0EEEvPKT_S5_PT0_PKliiiiiiiPKf,comdat
.Lfunc_end22:
	.size	_ZN4vllm27concat_and_cache_mla_kernelI14__hip_bfloat16S1_LNS_18Fp8KVCacheDataTypeE0EEEvPKT_S5_PT0_PKliiiiiiiPKf, .Lfunc_end22-_ZN4vllm27concat_and_cache_mla_kernelI14__hip_bfloat16S1_LNS_18Fp8KVCacheDataTypeE0EEEvPKT_S5_PT0_PKliiiiiiiPKf
                                        ; -- End function
	.set _ZN4vllm27concat_and_cache_mla_kernelI14__hip_bfloat16S1_LNS_18Fp8KVCacheDataTypeE0EEEvPKT_S5_PT0_PKliiiiiiiPKf.num_vgpr, 6
	.set _ZN4vllm27concat_and_cache_mla_kernelI14__hip_bfloat16S1_LNS_18Fp8KVCacheDataTypeE0EEEvPKT_S5_PT0_PKliiiiiiiPKf.num_agpr, 0
	.set _ZN4vllm27concat_and_cache_mla_kernelI14__hip_bfloat16S1_LNS_18Fp8KVCacheDataTypeE0EEEvPKT_S5_PT0_PKliiiiiiiPKf.numbered_sgpr, 32
	.set _ZN4vllm27concat_and_cache_mla_kernelI14__hip_bfloat16S1_LNS_18Fp8KVCacheDataTypeE0EEEvPKT_S5_PT0_PKliiiiiiiPKf.num_named_barrier, 0
	.set _ZN4vllm27concat_and_cache_mla_kernelI14__hip_bfloat16S1_LNS_18Fp8KVCacheDataTypeE0EEEvPKT_S5_PT0_PKliiiiiiiPKf.private_seg_size, 0
	.set _ZN4vllm27concat_and_cache_mla_kernelI14__hip_bfloat16S1_LNS_18Fp8KVCacheDataTypeE0EEEvPKT_S5_PT0_PKliiiiiiiPKf.uses_vcc, 1
	.set _ZN4vllm27concat_and_cache_mla_kernelI14__hip_bfloat16S1_LNS_18Fp8KVCacheDataTypeE0EEEvPKT_S5_PT0_PKliiiiiiiPKf.uses_flat_scratch, 0
	.set _ZN4vllm27concat_and_cache_mla_kernelI14__hip_bfloat16S1_LNS_18Fp8KVCacheDataTypeE0EEEvPKT_S5_PT0_PKliiiiiiiPKf.has_dyn_sized_stack, 0
	.set _ZN4vllm27concat_and_cache_mla_kernelI14__hip_bfloat16S1_LNS_18Fp8KVCacheDataTypeE0EEEvPKT_S5_PT0_PKliiiiiiiPKf.has_recursion, 0
	.set _ZN4vllm27concat_and_cache_mla_kernelI14__hip_bfloat16S1_LNS_18Fp8KVCacheDataTypeE0EEEvPKT_S5_PT0_PKliiiiiiiPKf.has_indirect_call, 0
	.section	.AMDGPU.csdata,"",@progbits
; Kernel info:
; codeLenInByte = 1284
; TotalNumSgprs: 34
; NumVgprs: 6
; ScratchSize: 0
; MemoryBound: 0
; FloatMode: 240
; IeeeMode: 1
; LDSByteSize: 0 bytes/workgroup (compile time only)
; SGPRBlocks: 0
; VGPRBlocks: 0
; NumSGPRsForWavesPerEU: 34
; NumVGPRsForWavesPerEU: 6
; Occupancy: 16
; WaveLimiterHint : 1
; COMPUTE_PGM_RSRC2:SCRATCH_EN: 0
; COMPUTE_PGM_RSRC2:USER_SGPR: 2
; COMPUTE_PGM_RSRC2:TRAP_HANDLER: 0
; COMPUTE_PGM_RSRC2:TGID_X_EN: 1
; COMPUTE_PGM_RSRC2:TGID_Y_EN: 0
; COMPUTE_PGM_RSRC2:TGID_Z_EN: 0
; COMPUTE_PGM_RSRC2:TIDIG_COMP_CNT: 0
	.section	.text._ZN4vllm27concat_and_cache_mla_kernelIfhLNS_18Fp8KVCacheDataTypeE1EEEvPKT_S4_PT0_PKliiiiiiiPKf,"axG",@progbits,_ZN4vllm27concat_and_cache_mla_kernelIfhLNS_18Fp8KVCacheDataTypeE1EEEvPKT_S4_PT0_PKliiiiiiiPKf,comdat
	.protected	_ZN4vllm27concat_and_cache_mla_kernelIfhLNS_18Fp8KVCacheDataTypeE1EEEvPKT_S4_PT0_PKliiiiiiiPKf ; -- Begin function _ZN4vllm27concat_and_cache_mla_kernelIfhLNS_18Fp8KVCacheDataTypeE1EEEvPKT_S4_PT0_PKliiiiiiiPKf
	.globl	_ZN4vllm27concat_and_cache_mla_kernelIfhLNS_18Fp8KVCacheDataTypeE1EEEvPKT_S4_PT0_PKliiiiiiiPKf
	.p2align	8
	.type	_ZN4vllm27concat_and_cache_mla_kernelIfhLNS_18Fp8KVCacheDataTypeE1EEEvPKT_S4_PT0_PKliiiiiiiPKf,@function
_ZN4vllm27concat_and_cache_mla_kernelIfhLNS_18Fp8KVCacheDataTypeE1EEEvPKT_S4_PT0_PKliiiiiiiPKf: ; @_ZN4vllm27concat_and_cache_mla_kernelIfhLNS_18Fp8KVCacheDataTypeE1EEEvPKT_S4_PT0_PKliiiiiiiPKf
; %bb.0:
	s_load_b64 s[2:3], s[0:1], 0x18
	s_mov_b32 s12, ttmp9
	s_mov_b32 s13, 0
	s_delay_alu instid0(SALU_CYCLE_1)
	s_lshl_b64 s[4:5], s[12:13], 3
	s_wait_kmcnt 0x0
	s_add_nc_u64 s[2:3], s[2:3], s[4:5]
	s_load_b64 s[2:3], s[2:3], 0x0
	s_wait_kmcnt 0x0
	v_cmp_lt_i64_e64 s4, s[2:3], 0
	s_and_b32 vcc_lo, exec_lo, s4
	s_cbranch_vccnz .LBB23_10
; %bb.1:
	s_clause 0x1
	s_load_b96 s[8:10], s[0:1], 0x30
	s_load_b128 s[4:7], s[0:1], 0x20
	s_wait_kmcnt 0x0
	s_ashr_i32 s11, s10, 31
	s_delay_alu instid0(SALU_CYCLE_1) | instskip(SKIP_1) | instid1(SALU_CYCLE_1)
	s_or_b64 s[14:15], s[2:3], s[10:11]
	s_mov_b32 s14, s13
	s_cmp_lg_u64 s[14:15], 0
	s_cbranch_scc0 .LBB23_11
; %bb.2:
	s_ashr_i32 s14, s11, 31
	s_delay_alu instid0(SALU_CYCLE_1) | instskip(NEXT) | instid1(SALU_CYCLE_1)
	s_mov_b32 s15, s14
	s_add_nc_u64 s[16:17], s[10:11], s[14:15]
	s_delay_alu instid0(SALU_CYCLE_1) | instskip(NEXT) | instid1(SALU_CYCLE_1)
	s_xor_b64 s[16:17], s[16:17], s[14:15]
	s_cvt_f32_u32 s18, s16
	s_cvt_f32_u32 s19, s17
	s_sub_nc_u64 s[22:23], 0, s[16:17]
	s_delay_alu instid0(SALU_CYCLE_2) | instskip(NEXT) | instid1(SALU_CYCLE_3)
	s_fmamk_f32 s18, s19, 0x4f800000, s18
	v_s_rcp_f32 s18, s18
	s_delay_alu instid0(TRANS32_DEP_1) | instskip(SKIP_1) | instid1(SALU_CYCLE_2)
	s_mul_f32 s18, s18, 0x5f7ffffc
	s_wait_alu 0xfffe
	s_mul_f32 s19, s18, 0x2f800000
	s_wait_alu 0xfffe
	s_delay_alu instid0(SALU_CYCLE_2) | instskip(SKIP_1) | instid1(SALU_CYCLE_2)
	s_trunc_f32 s19, s19
	s_wait_alu 0xfffe
	s_fmamk_f32 s18, s19, 0xcf800000, s18
	s_cvt_u32_f32 s21, s19
	s_mov_b32 s19, 0
	s_wait_alu 0xfffe
	s_cvt_u32_f32 s20, s18
	s_delay_alu instid0(SALU_CYCLE_3) | instskip(NEXT) | instid1(SALU_CYCLE_1)
	s_mul_u64 s[24:25], s[22:23], s[20:21]
	s_mul_hi_u32 s27, s20, s25
	s_mul_i32 s26, s20, s25
	s_mul_hi_u32 s18, s20, s24
	s_mul_i32 s29, s21, s24
	s_wait_alu 0xfffe
	s_add_nc_u64 s[26:27], s[18:19], s[26:27]
	s_mul_hi_u32 s28, s21, s24
	s_mul_hi_u32 s30, s21, s25
	s_add_co_u32 s18, s26, s29
	s_add_co_ci_u32 s18, s27, s28
	s_mul_i32 s24, s21, s25
	s_add_co_ci_u32 s25, s30, 0
	s_wait_alu 0xfffe
	s_add_nc_u64 s[24:25], s[18:19], s[24:25]
	s_delay_alu instid0(SALU_CYCLE_1) | instskip(SKIP_4) | instid1(SALU_CYCLE_1)
	s_add_co_u32 s20, s20, s24
	s_cselect_b32 s18, -1, 0
	s_wait_alu 0xfffe
	s_cmp_lg_u32 s18, 0
	s_add_co_ci_u32 s21, s21, s25
	s_mul_u64 s[22:23], s[22:23], s[20:21]
	s_delay_alu instid0(SALU_CYCLE_1)
	s_mul_hi_u32 s25, s20, s23
	s_mul_i32 s24, s20, s23
	s_mul_hi_u32 s18, s20, s22
	s_mul_i32 s27, s21, s22
	s_wait_alu 0xfffe
	s_add_nc_u64 s[24:25], s[18:19], s[24:25]
	s_mul_hi_u32 s26, s21, s22
	s_mul_hi_u32 s28, s21, s23
	s_add_co_u32 s18, s24, s27
	s_add_co_ci_u32 s18, s25, s26
	s_mul_i32 s22, s21, s23
	s_add_co_ci_u32 s23, s28, 0
	s_wait_alu 0xfffe
	s_add_nc_u64 s[22:23], s[18:19], s[22:23]
	s_delay_alu instid0(SALU_CYCLE_1)
	s_add_co_u32 s26, s20, s22
	s_cselect_b32 s18, -1, 0
	s_wait_alu 0xfffe
	s_cmp_lg_u32 s18, 0
	s_add_co_ci_u32 s27, s21, s23
	s_ashr_i32 s20, s3, 31
	s_delay_alu instid0(SALU_CYCLE_1) | instskip(NEXT) | instid1(SALU_CYCLE_1)
	s_mov_b32 s21, s20
	s_add_nc_u64 s[22:23], s[2:3], s[20:21]
	s_delay_alu instid0(SALU_CYCLE_1) | instskip(NEXT) | instid1(SALU_CYCLE_1)
	s_xor_b64 s[22:23], s[22:23], s[20:21]
	s_mul_hi_u32 s25, s22, s27
	s_mul_i32 s24, s22, s27
	s_mul_hi_u32 s18, s22, s26
	s_mul_i32 s30, s23, s26
	s_wait_alu 0xfffe
	s_add_nc_u64 s[24:25], s[18:19], s[24:25]
	s_mul_hi_u32 s29, s23, s26
	s_mul_hi_u32 s28, s23, s27
	s_add_co_u32 s18, s24, s30
	s_add_co_ci_u32 s18, s25, s29
	s_mul_i32 s26, s23, s27
	s_add_co_ci_u32 s27, s28, 0
	s_wait_alu 0xfffe
	s_add_nc_u64 s[24:25], s[18:19], s[26:27]
	s_delay_alu instid0(SALU_CYCLE_1) | instskip(NEXT) | instid1(SALU_CYCLE_1)
	s_mul_u64 s[26:27], s[16:17], s[24:25]
	s_sub_co_u32 s18, s22, s26
	s_cselect_b32 s22, -1, 0
	s_sub_co_i32 s26, s23, s27
	s_cmp_lg_u32 s22, 0
	s_sub_co_ci_u32 s26, s26, s17
	s_wait_alu 0xfffe
	s_sub_co_u32 s28, s18, s16
	s_cselect_b32 s29, -1, 0
	s_delay_alu instid0(SALU_CYCLE_1) | instskip(SKIP_1) | instid1(SALU_CYCLE_1)
	s_cmp_lg_u32 s29, 0
	s_sub_co_ci_u32 s26, s26, 0
	s_cmp_ge_u32 s26, s17
	s_cselect_b32 s30, -1, 0
	s_cmp_ge_u32 s28, s16
	s_add_nc_u64 s[28:29], s[24:25], 1
	s_cselect_b32 s31, -1, 0
	s_cmp_eq_u32 s26, s17
	s_cselect_b32 s26, s31, s30
	s_add_nc_u64 s[30:31], s[24:25], 2
	s_cmp_lg_u32 s26, 0
	s_cselect_b32 s26, s30, s28
	s_cselect_b32 s28, s31, s29
	s_cmp_lg_u32 s22, 0
	s_sub_co_ci_u32 s22, s23, s27
	s_delay_alu instid0(SALU_CYCLE_1)
	s_cmp_ge_u32 s22, s17
	s_cselect_b32 s23, -1, 0
	s_cmp_ge_u32 s18, s16
	s_cselect_b32 s16, -1, 0
	s_cmp_eq_u32 s22, s17
	s_cselect_b32 s16, s16, s23
	s_delay_alu instid0(SALU_CYCLE_1) | instskip(SKIP_3) | instid1(SALU_CYCLE_1)
	s_cmp_lg_u32 s16, 0
	s_cselect_b32 s17, s28, s25
	s_cselect_b32 s16, s26, s24
	s_xor_b64 s[14:15], s[20:21], s[14:15]
	s_xor_b64 s[16:17], s[16:17], s[14:15]
	s_delay_alu instid0(SALU_CYCLE_1)
	s_sub_nc_u64 s[14:15], s[16:17], s[14:15]
	s_cbranch_execnz .LBB23_4
.LBB23_3:
	v_cvt_f32_u32_e32 v1, s10
	s_sub_co_i32 s15, 0, s10
	s_delay_alu instid0(VALU_DEP_1) | instskip(NEXT) | instid1(TRANS32_DEP_1)
	v_rcp_iflag_f32_e32 v1, v1
	v_mul_f32_e32 v1, 0x4f7ffffe, v1
	s_delay_alu instid0(VALU_DEP_1) | instskip(NEXT) | instid1(VALU_DEP_1)
	v_cvt_u32_f32_e32 v1, v1
	v_readfirstlane_b32 s14, v1
	s_mul_i32 s15, s15, s14
	s_delay_alu instid0(SALU_CYCLE_1) | instskip(NEXT) | instid1(SALU_CYCLE_1)
	s_mul_hi_u32 s15, s14, s15
	s_add_co_i32 s14, s14, s15
	s_delay_alu instid0(SALU_CYCLE_1) | instskip(NEXT) | instid1(SALU_CYCLE_1)
	s_mul_hi_u32 s14, s2, s14
	s_mul_i32 s15, s14, s10
	s_add_co_i32 s16, s14, 1
	s_sub_co_i32 s15, s2, s15
	s_delay_alu instid0(SALU_CYCLE_1)
	s_sub_co_i32 s17, s15, s10
	s_cmp_ge_u32 s15, s10
	s_cselect_b32 s14, s16, s14
	s_cselect_b32 s15, s17, s15
	s_add_co_i32 s16, s14, 1
	s_cmp_ge_u32 s15, s10
	s_mov_b32 s15, 0
	s_cselect_b32 s14, s16, s14
.LBB23_4:
	s_clause 0x1
	s_load_b64 s[16:17], s[0:1], 0x10
	s_load_b64 s[18:19], s[0:1], 0x40
	s_mul_u64 s[10:11], s[14:15], s[10:11]
	s_wait_alu 0xfffe
	s_sub_nc_u64 s[10:11], s[2:3], s[10:11]
	s_mov_b32 s3, exec_lo
	v_cmpx_gt_i32_e64 s8, v0
	s_cbranch_execz .LBB23_7
; %bb.5:
	s_clause 0x1
	s_load_b64 s[22:23], s[0:1], 0x0
	s_load_b32 s2, s[0:1], 0x54
	s_wait_kmcnt 0x0
	s_load_b32 s24, s[18:19], 0x0
	s_ashr_i32 s21, s6, 31
	s_mov_b32 s20, s6
	s_ashr_i32 s27, s4, 31
	s_mov_b32 s26, s4
	;; [unrolled: 2-line block ×3, first 2 shown]
	s_mul_u64 s[20:21], s[20:21], s[12:13]
	s_mul_u64 s[26:27], s[14:15], s[26:27]
	v_mov_b32_e32 v1, v0
	s_mul_u64 s[28:29], s[10:11], s[28:29]
	s_add_nc_u64 s[26:27], s[16:17], s[26:27]
	s_lshl_b64 s[30:31], s[20:21], 2
	s_mov_b32 s6, 0
	s_add_nc_u64 s[20:21], s[26:27], s[28:29]
	s_mov_b32 s26, 0x43e00000
	s_add_nc_u64 s[22:23], s[22:23], s[30:31]
	s_and_b32 s25, s2, 0xffff
.LBB23_6:                               ; =>This Inner Loop Header: Depth=1
	v_ashrrev_i32_e32 v2, 31, v1
	s_delay_alu instid0(VALU_DEP_1) | instskip(NEXT) | instid1(VALU_DEP_1)
	v_lshlrev_b64_e32 v[3:4], 2, v[1:2]
	v_add_co_u32 v3, vcc_lo, s22, v3
	s_wait_alu 0xfffd
	s_delay_alu instid0(VALU_DEP_2)
	v_add_co_ci_u32_e64 v4, null, s23, v4, vcc_lo
	global_load_b32 v3, v[3:4], off
	s_wait_loadcnt 0x0
	s_wait_kmcnt 0x0
	v_div_scale_f32 v4, null, s24, s24, v3
	v_div_scale_f32 v7, vcc_lo, v3, s24, v3
	s_delay_alu instid0(VALU_DEP_2) | instskip(NEXT) | instid1(TRANS32_DEP_1)
	v_rcp_f32_e32 v5, v4
	v_fma_f32 v6, -v4, v5, 1.0
	s_delay_alu instid0(VALU_DEP_1) | instskip(NEXT) | instid1(VALU_DEP_1)
	v_fmac_f32_e32 v5, v6, v5
	v_mul_f32_e32 v6, v7, v5
	s_delay_alu instid0(VALU_DEP_1) | instskip(NEXT) | instid1(VALU_DEP_1)
	v_fma_f32 v8, -v4, v6, v7
	v_fmac_f32_e32 v6, v8, v5
	s_delay_alu instid0(VALU_DEP_1) | instskip(SKIP_1) | instid1(VALU_DEP_1)
	v_fma_f32 v4, -v4, v6, v7
	s_wait_alu 0xfffd
	v_div_fmas_f32 v4, v4, v5, v6
	v_mov_b32_e32 v5, 0
	s_delay_alu instid0(VALU_DEP_2) | instskip(SKIP_2) | instid1(VALU_DEP_3)
	v_div_fixup_f32 v4, v4, s24, v3
	v_add_co_u32 v3, vcc_lo, s20, v1
	v_add_nc_u32_e32 v1, s25, v1
	v_med3_num_f32 v6, v4, s26, 0xc3e00000
	v_cmp_nlg_f32_e64 s2, 0x7f800000, |v4|
	s_wait_alu 0xf1ff
	s_delay_alu instid0(VALU_DEP_1) | instskip(SKIP_1) | instid1(VALU_DEP_2)
	v_cndmask_b32_e64 v4, v6, v4, s2
	v_cmp_le_i32_e64 s2, s8, v1
	v_cvt_pk_fp8_f32 v5, v4, v4
	s_wait_alu 0xfffd
	v_add_co_ci_u32_e64 v4, null, s21, v2, vcc_lo
	s_or_b32 s6, s2, s6
	global_store_b8 v[3:4], v5, off
	s_and_not1_b32 exec_lo, exec_lo, s6
	s_cbranch_execnz .LBB23_6
.LBB23_7:
	s_wait_alu 0xfffe
	s_or_b32 exec_lo, exec_lo, s3
	s_load_b64 s[2:3], s[0:1], 0x8
	s_mov_b32 s6, exec_lo
	v_cmpx_gt_i32_e64 s9, v0
	s_cbranch_execz .LBB23_10
; %bb.8:
	s_load_b32 s0, s[0:1], 0x54
	s_wait_kmcnt 0x0
	s_load_b32 s1, s[18:19], 0x0
	s_ashr_i32 s19, s4, 31
	s_mov_b32 s18, s4
	s_ashr_i32 s21, s7, 31
	s_mov_b32 s20, s7
	;; [unrolled: 2-line block ×3, first 2 shown]
	s_wait_alu 0xfffe
	s_mul_u64 s[14:15], s[14:15], s[18:19]
	s_mul_u64 s[12:13], s[20:21], s[12:13]
	;; [unrolled: 1-line block ×3, first 2 shown]
	s_add_nc_u64 s[14:15], s[16:17], s[14:15]
	s_ashr_i32 s5, s8, 31
	s_mov_b32 s4, s8
	s_lshl_b64 s[12:13], s[12:13], 2
	s_wait_alu 0xfffe
	s_add_nc_u64 s[10:11], s[14:15], s[10:11]
	s_mov_b32 s6, 0
	s_add_nc_u64 s[2:3], s[2:3], s[12:13]
	s_wait_alu 0xfffe
	s_add_nc_u64 s[4:5], s[10:11], s[4:5]
	s_mov_b32 s8, 0x43e00000
	s_and_b32 s7, s0, 0xffff
.LBB23_9:                               ; =>This Inner Loop Header: Depth=1
	v_ashrrev_i32_e32 v1, 31, v0
	s_delay_alu instid0(VALU_DEP_1) | instskip(NEXT) | instid1(VALU_DEP_1)
	v_lshlrev_b64_e32 v[2:3], 2, v[0:1]
	v_add_co_u32 v2, vcc_lo, s2, v2
	s_wait_alu 0xfffd
	s_delay_alu instid0(VALU_DEP_2)
	v_add_co_ci_u32_e64 v3, null, s3, v3, vcc_lo
	global_load_b32 v2, v[2:3], off
	s_wait_loadcnt 0x0
	s_wait_kmcnt 0x0
	v_div_scale_f32 v3, null, s1, s1, v2
	v_div_scale_f32 v6, vcc_lo, v2, s1, v2
	s_delay_alu instid0(VALU_DEP_2) | instskip(NEXT) | instid1(TRANS32_DEP_1)
	v_rcp_f32_e32 v4, v3
	v_fma_f32 v5, -v3, v4, 1.0
	s_delay_alu instid0(VALU_DEP_1) | instskip(NEXT) | instid1(VALU_DEP_1)
	v_fmac_f32_e32 v4, v5, v4
	v_mul_f32_e32 v5, v6, v4
	s_delay_alu instid0(VALU_DEP_1) | instskip(NEXT) | instid1(VALU_DEP_1)
	v_fma_f32 v7, -v3, v5, v6
	v_fmac_f32_e32 v5, v7, v4
	s_delay_alu instid0(VALU_DEP_1) | instskip(SKIP_1) | instid1(VALU_DEP_1)
	v_fma_f32 v3, -v3, v5, v6
	s_wait_alu 0xfffd
	v_div_fmas_f32 v3, v3, v4, v5
	v_mov_b32_e32 v4, 0
	s_delay_alu instid0(VALU_DEP_2) | instskip(SKIP_3) | instid1(VALU_DEP_3)
	v_div_fixup_f32 v3, v3, s1, v2
	v_add_co_u32 v2, vcc_lo, s4, v0
	v_add_nc_u32_e32 v0, s7, v0
	s_wait_alu 0xfffe
	v_med3_num_f32 v5, v3, s8, 0xc3e00000
	v_cmp_nlg_f32_e64 s0, 0x7f800000, |v3|
	s_wait_alu 0xf1ff
	s_delay_alu instid0(VALU_DEP_1) | instskip(SKIP_1) | instid1(VALU_DEP_2)
	v_cndmask_b32_e64 v3, v5, v3, s0
	v_cmp_le_i32_e64 s0, s9, v0
	v_cvt_pk_fp8_f32 v4, v3, v3
	s_wait_alu 0xfffd
	v_add_co_ci_u32_e64 v3, null, s5, v1, vcc_lo
	s_or_b32 s6, s0, s6
	global_store_b8 v[2:3], v4, off
	s_wait_alu 0xfffe
	s_and_not1_b32 exec_lo, exec_lo, s6
	s_cbranch_execnz .LBB23_9
.LBB23_10:
	s_endpgm
.LBB23_11:
                                        ; implicit-def: $sgpr14_sgpr15
	s_branch .LBB23_3
	.section	.rodata,"a",@progbits
	.p2align	6, 0x0
	.amdhsa_kernel _ZN4vllm27concat_and_cache_mla_kernelIfhLNS_18Fp8KVCacheDataTypeE1EEEvPKT_S4_PT0_PKliiiiiiiPKf
		.amdhsa_group_segment_fixed_size 0
		.amdhsa_private_segment_fixed_size 0
		.amdhsa_kernarg_size 328
		.amdhsa_user_sgpr_count 2
		.amdhsa_user_sgpr_dispatch_ptr 0
		.amdhsa_user_sgpr_queue_ptr 0
		.amdhsa_user_sgpr_kernarg_segment_ptr 1
		.amdhsa_user_sgpr_dispatch_id 0
		.amdhsa_user_sgpr_private_segment_size 0
		.amdhsa_wavefront_size32 1
		.amdhsa_uses_dynamic_stack 0
		.amdhsa_enable_private_segment 0
		.amdhsa_system_sgpr_workgroup_id_x 1
		.amdhsa_system_sgpr_workgroup_id_y 0
		.amdhsa_system_sgpr_workgroup_id_z 0
		.amdhsa_system_sgpr_workgroup_info 0
		.amdhsa_system_vgpr_workitem_id 0
		.amdhsa_next_free_vgpr 9
		.amdhsa_next_free_sgpr 32
		.amdhsa_reserve_vcc 1
		.amdhsa_float_round_mode_32 0
		.amdhsa_float_round_mode_16_64 0
		.amdhsa_float_denorm_mode_32 3
		.amdhsa_float_denorm_mode_16_64 3
		.amdhsa_fp16_overflow 0
		.amdhsa_workgroup_processor_mode 1
		.amdhsa_memory_ordered 1
		.amdhsa_forward_progress 1
		.amdhsa_inst_pref_size 13
		.amdhsa_round_robin_scheduling 0
		.amdhsa_exception_fp_ieee_invalid_op 0
		.amdhsa_exception_fp_denorm_src 0
		.amdhsa_exception_fp_ieee_div_zero 0
		.amdhsa_exception_fp_ieee_overflow 0
		.amdhsa_exception_fp_ieee_underflow 0
		.amdhsa_exception_fp_ieee_inexact 0
		.amdhsa_exception_int_div_zero 0
	.end_amdhsa_kernel
	.section	.text._ZN4vllm27concat_and_cache_mla_kernelIfhLNS_18Fp8KVCacheDataTypeE1EEEvPKT_S4_PT0_PKliiiiiiiPKf,"axG",@progbits,_ZN4vllm27concat_and_cache_mla_kernelIfhLNS_18Fp8KVCacheDataTypeE1EEEvPKT_S4_PT0_PKliiiiiiiPKf,comdat
.Lfunc_end23:
	.size	_ZN4vllm27concat_and_cache_mla_kernelIfhLNS_18Fp8KVCacheDataTypeE1EEEvPKT_S4_PT0_PKliiiiiiiPKf, .Lfunc_end23-_ZN4vllm27concat_and_cache_mla_kernelIfhLNS_18Fp8KVCacheDataTypeE1EEEvPKT_S4_PT0_PKliiiiiiiPKf
                                        ; -- End function
	.set _ZN4vllm27concat_and_cache_mla_kernelIfhLNS_18Fp8KVCacheDataTypeE1EEEvPKT_S4_PT0_PKliiiiiiiPKf.num_vgpr, 9
	.set _ZN4vllm27concat_and_cache_mla_kernelIfhLNS_18Fp8KVCacheDataTypeE1EEEvPKT_S4_PT0_PKliiiiiiiPKf.num_agpr, 0
	.set _ZN4vllm27concat_and_cache_mla_kernelIfhLNS_18Fp8KVCacheDataTypeE1EEEvPKT_S4_PT0_PKliiiiiiiPKf.numbered_sgpr, 32
	.set _ZN4vllm27concat_and_cache_mla_kernelIfhLNS_18Fp8KVCacheDataTypeE1EEEvPKT_S4_PT0_PKliiiiiiiPKf.num_named_barrier, 0
	.set _ZN4vllm27concat_and_cache_mla_kernelIfhLNS_18Fp8KVCacheDataTypeE1EEEvPKT_S4_PT0_PKliiiiiiiPKf.private_seg_size, 0
	.set _ZN4vllm27concat_and_cache_mla_kernelIfhLNS_18Fp8KVCacheDataTypeE1EEEvPKT_S4_PT0_PKliiiiiiiPKf.uses_vcc, 1
	.set _ZN4vllm27concat_and_cache_mla_kernelIfhLNS_18Fp8KVCacheDataTypeE1EEEvPKT_S4_PT0_PKliiiiiiiPKf.uses_flat_scratch, 0
	.set _ZN4vllm27concat_and_cache_mla_kernelIfhLNS_18Fp8KVCacheDataTypeE1EEEvPKT_S4_PT0_PKliiiiiiiPKf.has_dyn_sized_stack, 0
	.set _ZN4vllm27concat_and_cache_mla_kernelIfhLNS_18Fp8KVCacheDataTypeE1EEEvPKT_S4_PT0_PKliiiiiiiPKf.has_recursion, 0
	.set _ZN4vllm27concat_and_cache_mla_kernelIfhLNS_18Fp8KVCacheDataTypeE1EEEvPKT_S4_PT0_PKliiiiiiiPKf.has_indirect_call, 0
	.section	.AMDGPU.csdata,"",@progbits
; Kernel info:
; codeLenInByte = 1600
; TotalNumSgprs: 34
; NumVgprs: 9
; ScratchSize: 0
; MemoryBound: 0
; FloatMode: 240
; IeeeMode: 1
; LDSByteSize: 0 bytes/workgroup (compile time only)
; SGPRBlocks: 0
; VGPRBlocks: 1
; NumSGPRsForWavesPerEU: 34
; NumVGPRsForWavesPerEU: 9
; Occupancy: 16
; WaveLimiterHint : 1
; COMPUTE_PGM_RSRC2:SCRATCH_EN: 0
; COMPUTE_PGM_RSRC2:USER_SGPR: 2
; COMPUTE_PGM_RSRC2:TRAP_HANDLER: 0
; COMPUTE_PGM_RSRC2:TGID_X_EN: 1
; COMPUTE_PGM_RSRC2:TGID_Y_EN: 0
; COMPUTE_PGM_RSRC2:TGID_Z_EN: 0
; COMPUTE_PGM_RSRC2:TIDIG_COMP_CNT: 0
	.section	.text._ZN4vllm27concat_and_cache_mla_kernelIthLNS_18Fp8KVCacheDataTypeE1EEEvPKT_S4_PT0_PKliiiiiiiPKf,"axG",@progbits,_ZN4vllm27concat_and_cache_mla_kernelIthLNS_18Fp8KVCacheDataTypeE1EEEvPKT_S4_PT0_PKliiiiiiiPKf,comdat
	.protected	_ZN4vllm27concat_and_cache_mla_kernelIthLNS_18Fp8KVCacheDataTypeE1EEEvPKT_S4_PT0_PKliiiiiiiPKf ; -- Begin function _ZN4vllm27concat_and_cache_mla_kernelIthLNS_18Fp8KVCacheDataTypeE1EEEvPKT_S4_PT0_PKliiiiiiiPKf
	.globl	_ZN4vllm27concat_and_cache_mla_kernelIthLNS_18Fp8KVCacheDataTypeE1EEEvPKT_S4_PT0_PKliiiiiiiPKf
	.p2align	8
	.type	_ZN4vllm27concat_and_cache_mla_kernelIthLNS_18Fp8KVCacheDataTypeE1EEEvPKT_S4_PT0_PKliiiiiiiPKf,@function
_ZN4vllm27concat_and_cache_mla_kernelIthLNS_18Fp8KVCacheDataTypeE1EEEvPKT_S4_PT0_PKliiiiiiiPKf: ; @_ZN4vllm27concat_and_cache_mla_kernelIthLNS_18Fp8KVCacheDataTypeE1EEEvPKT_S4_PT0_PKliiiiiiiPKf
; %bb.0:
	s_load_b64 s[2:3], s[0:1], 0x18
	s_mov_b32 s12, ttmp9
	s_mov_b32 s13, 0
	s_delay_alu instid0(SALU_CYCLE_1)
	s_lshl_b64 s[4:5], s[12:13], 3
	s_wait_kmcnt 0x0
	s_add_nc_u64 s[2:3], s[2:3], s[4:5]
	s_load_b64 s[2:3], s[2:3], 0x0
	s_wait_kmcnt 0x0
	v_cmp_lt_i64_e64 s4, s[2:3], 0
	s_and_b32 vcc_lo, exec_lo, s4
	s_cbranch_vccnz .LBB24_10
; %bb.1:
	s_clause 0x1
	s_load_b96 s[8:10], s[0:1], 0x30
	s_load_b128 s[4:7], s[0:1], 0x20
	s_wait_kmcnt 0x0
	s_ashr_i32 s11, s10, 31
	s_delay_alu instid0(SALU_CYCLE_1) | instskip(SKIP_1) | instid1(SALU_CYCLE_1)
	s_or_b64 s[14:15], s[2:3], s[10:11]
	s_mov_b32 s14, s13
	s_cmp_lg_u64 s[14:15], 0
	s_cbranch_scc0 .LBB24_11
; %bb.2:
	s_ashr_i32 s14, s11, 31
	s_delay_alu instid0(SALU_CYCLE_1) | instskip(NEXT) | instid1(SALU_CYCLE_1)
	s_mov_b32 s15, s14
	s_add_nc_u64 s[16:17], s[10:11], s[14:15]
	s_delay_alu instid0(SALU_CYCLE_1) | instskip(NEXT) | instid1(SALU_CYCLE_1)
	s_xor_b64 s[16:17], s[16:17], s[14:15]
	s_cvt_f32_u32 s18, s16
	s_cvt_f32_u32 s19, s17
	s_sub_nc_u64 s[22:23], 0, s[16:17]
	s_delay_alu instid0(SALU_CYCLE_2) | instskip(NEXT) | instid1(SALU_CYCLE_3)
	s_fmamk_f32 s18, s19, 0x4f800000, s18
	v_s_rcp_f32 s18, s18
	s_delay_alu instid0(TRANS32_DEP_1) | instskip(SKIP_1) | instid1(SALU_CYCLE_2)
	s_mul_f32 s18, s18, 0x5f7ffffc
	s_wait_alu 0xfffe
	s_mul_f32 s19, s18, 0x2f800000
	s_wait_alu 0xfffe
	s_delay_alu instid0(SALU_CYCLE_2) | instskip(SKIP_1) | instid1(SALU_CYCLE_2)
	s_trunc_f32 s19, s19
	s_wait_alu 0xfffe
	s_fmamk_f32 s18, s19, 0xcf800000, s18
	s_cvt_u32_f32 s21, s19
	s_mov_b32 s19, 0
	s_wait_alu 0xfffe
	s_cvt_u32_f32 s20, s18
	s_delay_alu instid0(SALU_CYCLE_3) | instskip(NEXT) | instid1(SALU_CYCLE_1)
	s_mul_u64 s[24:25], s[22:23], s[20:21]
	s_mul_hi_u32 s27, s20, s25
	s_mul_i32 s26, s20, s25
	s_mul_hi_u32 s18, s20, s24
	s_mul_i32 s29, s21, s24
	s_wait_alu 0xfffe
	s_add_nc_u64 s[26:27], s[18:19], s[26:27]
	s_mul_hi_u32 s28, s21, s24
	s_mul_hi_u32 s30, s21, s25
	s_add_co_u32 s18, s26, s29
	s_add_co_ci_u32 s18, s27, s28
	s_mul_i32 s24, s21, s25
	s_add_co_ci_u32 s25, s30, 0
	s_wait_alu 0xfffe
	s_add_nc_u64 s[24:25], s[18:19], s[24:25]
	s_delay_alu instid0(SALU_CYCLE_1) | instskip(SKIP_4) | instid1(SALU_CYCLE_1)
	s_add_co_u32 s20, s20, s24
	s_cselect_b32 s18, -1, 0
	s_wait_alu 0xfffe
	s_cmp_lg_u32 s18, 0
	s_add_co_ci_u32 s21, s21, s25
	s_mul_u64 s[22:23], s[22:23], s[20:21]
	s_delay_alu instid0(SALU_CYCLE_1)
	s_mul_hi_u32 s25, s20, s23
	s_mul_i32 s24, s20, s23
	s_mul_hi_u32 s18, s20, s22
	s_mul_i32 s27, s21, s22
	s_wait_alu 0xfffe
	s_add_nc_u64 s[24:25], s[18:19], s[24:25]
	s_mul_hi_u32 s26, s21, s22
	s_mul_hi_u32 s28, s21, s23
	s_add_co_u32 s18, s24, s27
	s_add_co_ci_u32 s18, s25, s26
	s_mul_i32 s22, s21, s23
	s_add_co_ci_u32 s23, s28, 0
	s_wait_alu 0xfffe
	s_add_nc_u64 s[22:23], s[18:19], s[22:23]
	s_delay_alu instid0(SALU_CYCLE_1)
	s_add_co_u32 s26, s20, s22
	s_cselect_b32 s18, -1, 0
	s_wait_alu 0xfffe
	s_cmp_lg_u32 s18, 0
	s_add_co_ci_u32 s27, s21, s23
	s_ashr_i32 s20, s3, 31
	s_delay_alu instid0(SALU_CYCLE_1) | instskip(NEXT) | instid1(SALU_CYCLE_1)
	s_mov_b32 s21, s20
	s_add_nc_u64 s[22:23], s[2:3], s[20:21]
	s_delay_alu instid0(SALU_CYCLE_1) | instskip(NEXT) | instid1(SALU_CYCLE_1)
	s_xor_b64 s[22:23], s[22:23], s[20:21]
	s_mul_hi_u32 s25, s22, s27
	s_mul_i32 s24, s22, s27
	s_mul_hi_u32 s18, s22, s26
	s_mul_i32 s30, s23, s26
	s_wait_alu 0xfffe
	s_add_nc_u64 s[24:25], s[18:19], s[24:25]
	s_mul_hi_u32 s29, s23, s26
	s_mul_hi_u32 s28, s23, s27
	s_add_co_u32 s18, s24, s30
	s_add_co_ci_u32 s18, s25, s29
	s_mul_i32 s26, s23, s27
	s_add_co_ci_u32 s27, s28, 0
	s_wait_alu 0xfffe
	s_add_nc_u64 s[24:25], s[18:19], s[26:27]
	s_delay_alu instid0(SALU_CYCLE_1) | instskip(NEXT) | instid1(SALU_CYCLE_1)
	s_mul_u64 s[26:27], s[16:17], s[24:25]
	s_sub_co_u32 s18, s22, s26
	s_cselect_b32 s22, -1, 0
	s_sub_co_i32 s26, s23, s27
	s_cmp_lg_u32 s22, 0
	s_sub_co_ci_u32 s26, s26, s17
	s_wait_alu 0xfffe
	s_sub_co_u32 s28, s18, s16
	s_cselect_b32 s29, -1, 0
	s_delay_alu instid0(SALU_CYCLE_1) | instskip(SKIP_1) | instid1(SALU_CYCLE_1)
	s_cmp_lg_u32 s29, 0
	s_sub_co_ci_u32 s26, s26, 0
	s_cmp_ge_u32 s26, s17
	s_cselect_b32 s30, -1, 0
	s_cmp_ge_u32 s28, s16
	s_add_nc_u64 s[28:29], s[24:25], 1
	s_cselect_b32 s31, -1, 0
	s_cmp_eq_u32 s26, s17
	s_cselect_b32 s26, s31, s30
	s_add_nc_u64 s[30:31], s[24:25], 2
	s_cmp_lg_u32 s26, 0
	s_cselect_b32 s26, s30, s28
	s_cselect_b32 s28, s31, s29
	s_cmp_lg_u32 s22, 0
	s_sub_co_ci_u32 s22, s23, s27
	s_delay_alu instid0(SALU_CYCLE_1)
	s_cmp_ge_u32 s22, s17
	s_cselect_b32 s23, -1, 0
	s_cmp_ge_u32 s18, s16
	s_cselect_b32 s16, -1, 0
	s_cmp_eq_u32 s22, s17
	s_cselect_b32 s16, s16, s23
	s_delay_alu instid0(SALU_CYCLE_1) | instskip(SKIP_3) | instid1(SALU_CYCLE_1)
	s_cmp_lg_u32 s16, 0
	s_cselect_b32 s17, s28, s25
	s_cselect_b32 s16, s26, s24
	s_xor_b64 s[14:15], s[20:21], s[14:15]
	s_xor_b64 s[16:17], s[16:17], s[14:15]
	s_delay_alu instid0(SALU_CYCLE_1)
	s_sub_nc_u64 s[14:15], s[16:17], s[14:15]
	s_cbranch_execnz .LBB24_4
.LBB24_3:
	v_cvt_f32_u32_e32 v1, s10
	s_sub_co_i32 s15, 0, s10
	s_delay_alu instid0(VALU_DEP_1) | instskip(NEXT) | instid1(TRANS32_DEP_1)
	v_rcp_iflag_f32_e32 v1, v1
	v_mul_f32_e32 v1, 0x4f7ffffe, v1
	s_delay_alu instid0(VALU_DEP_1) | instskip(NEXT) | instid1(VALU_DEP_1)
	v_cvt_u32_f32_e32 v1, v1
	v_readfirstlane_b32 s14, v1
	s_mul_i32 s15, s15, s14
	s_delay_alu instid0(SALU_CYCLE_1) | instskip(NEXT) | instid1(SALU_CYCLE_1)
	s_mul_hi_u32 s15, s14, s15
	s_add_co_i32 s14, s14, s15
	s_delay_alu instid0(SALU_CYCLE_1) | instskip(NEXT) | instid1(SALU_CYCLE_1)
	s_mul_hi_u32 s14, s2, s14
	s_mul_i32 s15, s14, s10
	s_add_co_i32 s16, s14, 1
	s_sub_co_i32 s15, s2, s15
	s_delay_alu instid0(SALU_CYCLE_1)
	s_sub_co_i32 s17, s15, s10
	s_cmp_ge_u32 s15, s10
	s_cselect_b32 s14, s16, s14
	s_cselect_b32 s15, s17, s15
	s_add_co_i32 s16, s14, 1
	s_cmp_ge_u32 s15, s10
	s_mov_b32 s15, 0
	s_cselect_b32 s14, s16, s14
.LBB24_4:
	s_clause 0x1
	s_load_b64 s[16:17], s[0:1], 0x10
	s_load_b64 s[18:19], s[0:1], 0x40
	s_mul_u64 s[10:11], s[14:15], s[10:11]
	s_wait_alu 0xfffe
	s_sub_nc_u64 s[10:11], s[2:3], s[10:11]
	s_mov_b32 s3, exec_lo
	v_cmpx_gt_i32_e64 s8, v0
	s_cbranch_execz .LBB24_7
; %bb.5:
	s_clause 0x1
	s_load_b64 s[22:23], s[0:1], 0x0
	s_load_b32 s2, s[0:1], 0x54
	s_wait_kmcnt 0x0
	s_load_b32 s24, s[18:19], 0x0
	s_ashr_i32 s21, s6, 31
	s_mov_b32 s20, s6
	s_ashr_i32 s27, s4, 31
	s_mov_b32 s26, s4
	;; [unrolled: 2-line block ×3, first 2 shown]
	s_mul_u64 s[20:21], s[20:21], s[12:13]
	s_mul_u64 s[26:27], s[14:15], s[26:27]
	v_mov_b32_e32 v1, v0
	s_mul_u64 s[28:29], s[10:11], s[28:29]
	s_add_nc_u64 s[26:27], s[16:17], s[26:27]
	s_lshl_b64 s[30:31], s[20:21], 1
	s_mov_b32 s6, 0
	s_add_nc_u64 s[20:21], s[26:27], s[28:29]
	s_mov_b32 s26, 0x43e00000
	s_add_nc_u64 s[22:23], s[22:23], s[30:31]
	s_and_b32 s25, s2, 0xffff
.LBB24_6:                               ; =>This Inner Loop Header: Depth=1
	v_ashrrev_i32_e32 v2, 31, v1
	s_delay_alu instid0(VALU_DEP_1) | instskip(NEXT) | instid1(VALU_DEP_1)
	v_lshlrev_b64_e32 v[3:4], 1, v[1:2]
	v_add_co_u32 v3, vcc_lo, s22, v3
	s_wait_alu 0xfffd
	s_delay_alu instid0(VALU_DEP_2) | instskip(SKIP_4) | instid1(VALU_DEP_1)
	v_add_co_ci_u32_e64 v4, null, s23, v4, vcc_lo
	global_load_u16 v3, v[3:4], off
	s_wait_loadcnt 0x0
	v_cvt_f32_f16_e32 v3, v3
	s_wait_kmcnt 0x0
	v_div_scale_f32 v4, null, s24, s24, v3
	v_div_scale_f32 v7, vcc_lo, v3, s24, v3
	s_delay_alu instid0(VALU_DEP_2) | instskip(NEXT) | instid1(TRANS32_DEP_1)
	v_rcp_f32_e32 v5, v4
	v_fma_f32 v6, -v4, v5, 1.0
	s_delay_alu instid0(VALU_DEP_1) | instskip(NEXT) | instid1(VALU_DEP_1)
	v_fmac_f32_e32 v5, v6, v5
	v_mul_f32_e32 v6, v7, v5
	s_delay_alu instid0(VALU_DEP_1) | instskip(NEXT) | instid1(VALU_DEP_1)
	v_fma_f32 v8, -v4, v6, v7
	v_fmac_f32_e32 v6, v8, v5
	s_delay_alu instid0(VALU_DEP_1) | instskip(SKIP_1) | instid1(VALU_DEP_1)
	v_fma_f32 v4, -v4, v6, v7
	s_wait_alu 0xfffd
	v_div_fmas_f32 v4, v4, v5, v6
	v_mov_b32_e32 v5, 0
	s_delay_alu instid0(VALU_DEP_2) | instskip(NEXT) | instid1(VALU_DEP_1)
	v_div_fixup_f32 v3, v4, s24, v3
	v_cvt_f16_f32_e32 v3, v3
	s_delay_alu instid0(VALU_DEP_1) | instskip(SKIP_2) | instid1(VALU_DEP_3)
	v_cvt_f32_f16_e32 v4, v3
	v_add_co_u32 v3, vcc_lo, s20, v1
	v_add_nc_u32_e32 v1, s25, v1
	v_med3_num_f32 v6, v4, s26, 0xc3e00000
	v_cmp_nlg_f32_e64 s2, 0x7f800000, |v4|
	s_wait_alu 0xf1ff
	s_delay_alu instid0(VALU_DEP_1) | instskip(SKIP_1) | instid1(VALU_DEP_2)
	v_cndmask_b32_e64 v4, v6, v4, s2
	v_cmp_le_i32_e64 s2, s8, v1
	v_cvt_pk_fp8_f32 v5, v4, v4
	s_wait_alu 0xfffd
	v_add_co_ci_u32_e64 v4, null, s21, v2, vcc_lo
	s_or_b32 s6, s2, s6
	global_store_b8 v[3:4], v5, off
	s_and_not1_b32 exec_lo, exec_lo, s6
	s_cbranch_execnz .LBB24_6
.LBB24_7:
	s_wait_alu 0xfffe
	s_or_b32 exec_lo, exec_lo, s3
	s_load_b64 s[2:3], s[0:1], 0x8
	s_mov_b32 s6, exec_lo
	v_cmpx_gt_i32_e64 s9, v0
	s_cbranch_execz .LBB24_10
; %bb.8:
	s_load_b32 s0, s[0:1], 0x54
	s_wait_kmcnt 0x0
	s_load_b32 s1, s[18:19], 0x0
	s_ashr_i32 s19, s4, 31
	s_mov_b32 s18, s4
	s_ashr_i32 s21, s7, 31
	s_mov_b32 s20, s7
	;; [unrolled: 2-line block ×3, first 2 shown]
	s_wait_alu 0xfffe
	s_mul_u64 s[14:15], s[14:15], s[18:19]
	s_mul_u64 s[12:13], s[20:21], s[12:13]
	;; [unrolled: 1-line block ×3, first 2 shown]
	s_add_nc_u64 s[14:15], s[16:17], s[14:15]
	s_ashr_i32 s5, s8, 31
	s_mov_b32 s4, s8
	s_lshl_b64 s[12:13], s[12:13], 1
	s_wait_alu 0xfffe
	s_add_nc_u64 s[10:11], s[14:15], s[10:11]
	s_mov_b32 s6, 0
	s_add_nc_u64 s[2:3], s[2:3], s[12:13]
	s_wait_alu 0xfffe
	s_add_nc_u64 s[4:5], s[10:11], s[4:5]
	s_mov_b32 s8, 0x43e00000
	s_and_b32 s7, s0, 0xffff
.LBB24_9:                               ; =>This Inner Loop Header: Depth=1
	v_ashrrev_i32_e32 v1, 31, v0
	s_delay_alu instid0(VALU_DEP_1) | instskip(NEXT) | instid1(VALU_DEP_1)
	v_lshlrev_b64_e32 v[2:3], 1, v[0:1]
	v_add_co_u32 v2, vcc_lo, s2, v2
	s_wait_alu 0xfffd
	s_delay_alu instid0(VALU_DEP_2) | instskip(SKIP_4) | instid1(VALU_DEP_1)
	v_add_co_ci_u32_e64 v3, null, s3, v3, vcc_lo
	global_load_u16 v2, v[2:3], off
	s_wait_loadcnt 0x0
	v_cvt_f32_f16_e32 v2, v2
	s_wait_kmcnt 0x0
	v_div_scale_f32 v3, null, s1, s1, v2
	v_div_scale_f32 v6, vcc_lo, v2, s1, v2
	s_delay_alu instid0(VALU_DEP_2) | instskip(NEXT) | instid1(TRANS32_DEP_1)
	v_rcp_f32_e32 v4, v3
	v_fma_f32 v5, -v3, v4, 1.0
	s_delay_alu instid0(VALU_DEP_1) | instskip(NEXT) | instid1(VALU_DEP_1)
	v_fmac_f32_e32 v4, v5, v4
	v_mul_f32_e32 v5, v6, v4
	s_delay_alu instid0(VALU_DEP_1) | instskip(NEXT) | instid1(VALU_DEP_1)
	v_fma_f32 v7, -v3, v5, v6
	v_fmac_f32_e32 v5, v7, v4
	s_delay_alu instid0(VALU_DEP_1) | instskip(SKIP_1) | instid1(VALU_DEP_1)
	v_fma_f32 v3, -v3, v5, v6
	s_wait_alu 0xfffd
	v_div_fmas_f32 v3, v3, v4, v5
	v_mov_b32_e32 v4, 0
	s_delay_alu instid0(VALU_DEP_2) | instskip(NEXT) | instid1(VALU_DEP_1)
	v_div_fixup_f32 v2, v3, s1, v2
	v_cvt_f16_f32_e32 v2, v2
	s_delay_alu instid0(VALU_DEP_1) | instskip(SKIP_3) | instid1(VALU_DEP_3)
	v_cvt_f32_f16_e32 v3, v2
	v_add_co_u32 v2, vcc_lo, s4, v0
	v_add_nc_u32_e32 v0, s7, v0
	s_wait_alu 0xfffe
	v_med3_num_f32 v5, v3, s8, 0xc3e00000
	v_cmp_nlg_f32_e64 s0, 0x7f800000, |v3|
	s_wait_alu 0xf1ff
	s_delay_alu instid0(VALU_DEP_1) | instskip(SKIP_1) | instid1(VALU_DEP_2)
	v_cndmask_b32_e64 v3, v5, v3, s0
	v_cmp_le_i32_e64 s0, s9, v0
	v_cvt_pk_fp8_f32 v4, v3, v3
	s_wait_alu 0xfffd
	v_add_co_ci_u32_e64 v3, null, s5, v1, vcc_lo
	s_or_b32 s6, s0, s6
	global_store_b8 v[2:3], v4, off
	s_wait_alu 0xfffe
	s_and_not1_b32 exec_lo, exec_lo, s6
	s_cbranch_execnz .LBB24_9
.LBB24_10:
	s_endpgm
.LBB24_11:
                                        ; implicit-def: $sgpr14_sgpr15
	s_branch .LBB24_3
	.section	.rodata,"a",@progbits
	.p2align	6, 0x0
	.amdhsa_kernel _ZN4vllm27concat_and_cache_mla_kernelIthLNS_18Fp8KVCacheDataTypeE1EEEvPKT_S4_PT0_PKliiiiiiiPKf
		.amdhsa_group_segment_fixed_size 0
		.amdhsa_private_segment_fixed_size 0
		.amdhsa_kernarg_size 328
		.amdhsa_user_sgpr_count 2
		.amdhsa_user_sgpr_dispatch_ptr 0
		.amdhsa_user_sgpr_queue_ptr 0
		.amdhsa_user_sgpr_kernarg_segment_ptr 1
		.amdhsa_user_sgpr_dispatch_id 0
		.amdhsa_user_sgpr_private_segment_size 0
		.amdhsa_wavefront_size32 1
		.amdhsa_uses_dynamic_stack 0
		.amdhsa_enable_private_segment 0
		.amdhsa_system_sgpr_workgroup_id_x 1
		.amdhsa_system_sgpr_workgroup_id_y 0
		.amdhsa_system_sgpr_workgroup_id_z 0
		.amdhsa_system_sgpr_workgroup_info 0
		.amdhsa_system_vgpr_workitem_id 0
		.amdhsa_next_free_vgpr 9
		.amdhsa_next_free_sgpr 32
		.amdhsa_reserve_vcc 1
		.amdhsa_float_round_mode_32 0
		.amdhsa_float_round_mode_16_64 0
		.amdhsa_float_denorm_mode_32 3
		.amdhsa_float_denorm_mode_16_64 3
		.amdhsa_fp16_overflow 0
		.amdhsa_workgroup_processor_mode 1
		.amdhsa_memory_ordered 1
		.amdhsa_forward_progress 1
		.amdhsa_inst_pref_size 13
		.amdhsa_round_robin_scheduling 0
		.amdhsa_exception_fp_ieee_invalid_op 0
		.amdhsa_exception_fp_denorm_src 0
		.amdhsa_exception_fp_ieee_div_zero 0
		.amdhsa_exception_fp_ieee_overflow 0
		.amdhsa_exception_fp_ieee_underflow 0
		.amdhsa_exception_fp_ieee_inexact 0
		.amdhsa_exception_int_div_zero 0
	.end_amdhsa_kernel
	.section	.text._ZN4vllm27concat_and_cache_mla_kernelIthLNS_18Fp8KVCacheDataTypeE1EEEvPKT_S4_PT0_PKliiiiiiiPKf,"axG",@progbits,_ZN4vllm27concat_and_cache_mla_kernelIthLNS_18Fp8KVCacheDataTypeE1EEEvPKT_S4_PT0_PKliiiiiiiPKf,comdat
.Lfunc_end24:
	.size	_ZN4vllm27concat_and_cache_mla_kernelIthLNS_18Fp8KVCacheDataTypeE1EEEvPKT_S4_PT0_PKliiiiiiiPKf, .Lfunc_end24-_ZN4vllm27concat_and_cache_mla_kernelIthLNS_18Fp8KVCacheDataTypeE1EEEvPKT_S4_PT0_PKliiiiiiiPKf
                                        ; -- End function
	.set _ZN4vllm27concat_and_cache_mla_kernelIthLNS_18Fp8KVCacheDataTypeE1EEEvPKT_S4_PT0_PKliiiiiiiPKf.num_vgpr, 9
	.set _ZN4vllm27concat_and_cache_mla_kernelIthLNS_18Fp8KVCacheDataTypeE1EEEvPKT_S4_PT0_PKliiiiiiiPKf.num_agpr, 0
	.set _ZN4vllm27concat_and_cache_mla_kernelIthLNS_18Fp8KVCacheDataTypeE1EEEvPKT_S4_PT0_PKliiiiiiiPKf.numbered_sgpr, 32
	.set _ZN4vllm27concat_and_cache_mla_kernelIthLNS_18Fp8KVCacheDataTypeE1EEEvPKT_S4_PT0_PKliiiiiiiPKf.num_named_barrier, 0
	.set _ZN4vllm27concat_and_cache_mla_kernelIthLNS_18Fp8KVCacheDataTypeE1EEEvPKT_S4_PT0_PKliiiiiiiPKf.private_seg_size, 0
	.set _ZN4vllm27concat_and_cache_mla_kernelIthLNS_18Fp8KVCacheDataTypeE1EEEvPKT_S4_PT0_PKliiiiiiiPKf.uses_vcc, 1
	.set _ZN4vllm27concat_and_cache_mla_kernelIthLNS_18Fp8KVCacheDataTypeE1EEEvPKT_S4_PT0_PKliiiiiiiPKf.uses_flat_scratch, 0
	.set _ZN4vllm27concat_and_cache_mla_kernelIthLNS_18Fp8KVCacheDataTypeE1EEEvPKT_S4_PT0_PKliiiiiiiPKf.has_dyn_sized_stack, 0
	.set _ZN4vllm27concat_and_cache_mla_kernelIthLNS_18Fp8KVCacheDataTypeE1EEEvPKT_S4_PT0_PKliiiiiiiPKf.has_recursion, 0
	.set _ZN4vllm27concat_and_cache_mla_kernelIthLNS_18Fp8KVCacheDataTypeE1EEEvPKT_S4_PT0_PKliiiiiiiPKf.has_indirect_call, 0
	.section	.AMDGPU.csdata,"",@progbits
; Kernel info:
; codeLenInByte = 1632
; TotalNumSgprs: 34
; NumVgprs: 9
; ScratchSize: 0
; MemoryBound: 0
; FloatMode: 240
; IeeeMode: 1
; LDSByteSize: 0 bytes/workgroup (compile time only)
; SGPRBlocks: 0
; VGPRBlocks: 1
; NumSGPRsForWavesPerEU: 34
; NumVGPRsForWavesPerEU: 9
; Occupancy: 16
; WaveLimiterHint : 1
; COMPUTE_PGM_RSRC2:SCRATCH_EN: 0
; COMPUTE_PGM_RSRC2:USER_SGPR: 2
; COMPUTE_PGM_RSRC2:TRAP_HANDLER: 0
; COMPUTE_PGM_RSRC2:TGID_X_EN: 1
; COMPUTE_PGM_RSRC2:TGID_Y_EN: 0
; COMPUTE_PGM_RSRC2:TGID_Z_EN: 0
; COMPUTE_PGM_RSRC2:TIDIG_COMP_CNT: 0
	.section	.text._ZN4vllm27concat_and_cache_mla_kernelI14__hip_bfloat16hLNS_18Fp8KVCacheDataTypeE1EEEvPKT_S5_PT0_PKliiiiiiiPKf,"axG",@progbits,_ZN4vllm27concat_and_cache_mla_kernelI14__hip_bfloat16hLNS_18Fp8KVCacheDataTypeE1EEEvPKT_S5_PT0_PKliiiiiiiPKf,comdat
	.protected	_ZN4vllm27concat_and_cache_mla_kernelI14__hip_bfloat16hLNS_18Fp8KVCacheDataTypeE1EEEvPKT_S5_PT0_PKliiiiiiiPKf ; -- Begin function _ZN4vllm27concat_and_cache_mla_kernelI14__hip_bfloat16hLNS_18Fp8KVCacheDataTypeE1EEEvPKT_S5_PT0_PKliiiiiiiPKf
	.globl	_ZN4vllm27concat_and_cache_mla_kernelI14__hip_bfloat16hLNS_18Fp8KVCacheDataTypeE1EEEvPKT_S5_PT0_PKliiiiiiiPKf
	.p2align	8
	.type	_ZN4vllm27concat_and_cache_mla_kernelI14__hip_bfloat16hLNS_18Fp8KVCacheDataTypeE1EEEvPKT_S5_PT0_PKliiiiiiiPKf,@function
_ZN4vllm27concat_and_cache_mla_kernelI14__hip_bfloat16hLNS_18Fp8KVCacheDataTypeE1EEEvPKT_S5_PT0_PKliiiiiiiPKf: ; @_ZN4vllm27concat_and_cache_mla_kernelI14__hip_bfloat16hLNS_18Fp8KVCacheDataTypeE1EEEvPKT_S5_PT0_PKliiiiiiiPKf
; %bb.0:
	s_load_b64 s[2:3], s[0:1], 0x18
	s_mov_b32 s12, ttmp9
	s_mov_b32 s13, 0
	s_delay_alu instid0(SALU_CYCLE_1)
	s_lshl_b64 s[4:5], s[12:13], 3
	s_wait_kmcnt 0x0
	s_add_nc_u64 s[2:3], s[2:3], s[4:5]
	s_load_b64 s[2:3], s[2:3], 0x0
	s_wait_kmcnt 0x0
	v_cmp_lt_i64_e64 s4, s[2:3], 0
	s_and_b32 vcc_lo, exec_lo, s4
	s_cbranch_vccnz .LBB25_10
; %bb.1:
	s_clause 0x1
	s_load_b96 s[8:10], s[0:1], 0x30
	s_load_b128 s[4:7], s[0:1], 0x20
	s_wait_kmcnt 0x0
	s_ashr_i32 s11, s10, 31
	s_delay_alu instid0(SALU_CYCLE_1) | instskip(SKIP_1) | instid1(SALU_CYCLE_1)
	s_or_b64 s[14:15], s[2:3], s[10:11]
	s_mov_b32 s14, s13
	s_cmp_lg_u64 s[14:15], 0
	s_cbranch_scc0 .LBB25_11
; %bb.2:
	s_ashr_i32 s14, s11, 31
	s_delay_alu instid0(SALU_CYCLE_1) | instskip(NEXT) | instid1(SALU_CYCLE_1)
	s_mov_b32 s15, s14
	s_add_nc_u64 s[16:17], s[10:11], s[14:15]
	s_delay_alu instid0(SALU_CYCLE_1) | instskip(NEXT) | instid1(SALU_CYCLE_1)
	s_xor_b64 s[16:17], s[16:17], s[14:15]
	s_cvt_f32_u32 s18, s16
	s_cvt_f32_u32 s19, s17
	s_sub_nc_u64 s[22:23], 0, s[16:17]
	s_delay_alu instid0(SALU_CYCLE_2) | instskip(NEXT) | instid1(SALU_CYCLE_3)
	s_fmamk_f32 s18, s19, 0x4f800000, s18
	v_s_rcp_f32 s18, s18
	s_delay_alu instid0(TRANS32_DEP_1) | instskip(SKIP_1) | instid1(SALU_CYCLE_2)
	s_mul_f32 s18, s18, 0x5f7ffffc
	s_wait_alu 0xfffe
	s_mul_f32 s19, s18, 0x2f800000
	s_wait_alu 0xfffe
	s_delay_alu instid0(SALU_CYCLE_2) | instskip(SKIP_1) | instid1(SALU_CYCLE_2)
	s_trunc_f32 s19, s19
	s_wait_alu 0xfffe
	s_fmamk_f32 s18, s19, 0xcf800000, s18
	s_cvt_u32_f32 s21, s19
	s_mov_b32 s19, 0
	s_wait_alu 0xfffe
	s_cvt_u32_f32 s20, s18
	s_delay_alu instid0(SALU_CYCLE_3) | instskip(NEXT) | instid1(SALU_CYCLE_1)
	s_mul_u64 s[24:25], s[22:23], s[20:21]
	s_mul_hi_u32 s27, s20, s25
	s_mul_i32 s26, s20, s25
	s_mul_hi_u32 s18, s20, s24
	s_mul_i32 s29, s21, s24
	s_wait_alu 0xfffe
	s_add_nc_u64 s[26:27], s[18:19], s[26:27]
	s_mul_hi_u32 s28, s21, s24
	s_mul_hi_u32 s30, s21, s25
	s_add_co_u32 s18, s26, s29
	s_add_co_ci_u32 s18, s27, s28
	s_mul_i32 s24, s21, s25
	s_add_co_ci_u32 s25, s30, 0
	s_wait_alu 0xfffe
	s_add_nc_u64 s[24:25], s[18:19], s[24:25]
	s_delay_alu instid0(SALU_CYCLE_1) | instskip(SKIP_4) | instid1(SALU_CYCLE_1)
	s_add_co_u32 s20, s20, s24
	s_cselect_b32 s18, -1, 0
	s_wait_alu 0xfffe
	s_cmp_lg_u32 s18, 0
	s_add_co_ci_u32 s21, s21, s25
	s_mul_u64 s[22:23], s[22:23], s[20:21]
	s_delay_alu instid0(SALU_CYCLE_1)
	s_mul_hi_u32 s25, s20, s23
	s_mul_i32 s24, s20, s23
	s_mul_hi_u32 s18, s20, s22
	s_mul_i32 s27, s21, s22
	s_wait_alu 0xfffe
	s_add_nc_u64 s[24:25], s[18:19], s[24:25]
	s_mul_hi_u32 s26, s21, s22
	s_mul_hi_u32 s28, s21, s23
	s_add_co_u32 s18, s24, s27
	s_add_co_ci_u32 s18, s25, s26
	s_mul_i32 s22, s21, s23
	s_add_co_ci_u32 s23, s28, 0
	s_wait_alu 0xfffe
	s_add_nc_u64 s[22:23], s[18:19], s[22:23]
	s_delay_alu instid0(SALU_CYCLE_1)
	s_add_co_u32 s26, s20, s22
	s_cselect_b32 s18, -1, 0
	s_wait_alu 0xfffe
	s_cmp_lg_u32 s18, 0
	s_add_co_ci_u32 s27, s21, s23
	s_ashr_i32 s20, s3, 31
	s_delay_alu instid0(SALU_CYCLE_1) | instskip(NEXT) | instid1(SALU_CYCLE_1)
	s_mov_b32 s21, s20
	s_add_nc_u64 s[22:23], s[2:3], s[20:21]
	s_delay_alu instid0(SALU_CYCLE_1) | instskip(NEXT) | instid1(SALU_CYCLE_1)
	s_xor_b64 s[22:23], s[22:23], s[20:21]
	s_mul_hi_u32 s25, s22, s27
	s_mul_i32 s24, s22, s27
	s_mul_hi_u32 s18, s22, s26
	s_mul_i32 s30, s23, s26
	s_wait_alu 0xfffe
	s_add_nc_u64 s[24:25], s[18:19], s[24:25]
	s_mul_hi_u32 s29, s23, s26
	s_mul_hi_u32 s28, s23, s27
	s_add_co_u32 s18, s24, s30
	s_add_co_ci_u32 s18, s25, s29
	s_mul_i32 s26, s23, s27
	s_add_co_ci_u32 s27, s28, 0
	s_wait_alu 0xfffe
	s_add_nc_u64 s[24:25], s[18:19], s[26:27]
	s_delay_alu instid0(SALU_CYCLE_1) | instskip(NEXT) | instid1(SALU_CYCLE_1)
	s_mul_u64 s[26:27], s[16:17], s[24:25]
	s_sub_co_u32 s18, s22, s26
	s_cselect_b32 s22, -1, 0
	s_sub_co_i32 s26, s23, s27
	s_cmp_lg_u32 s22, 0
	s_sub_co_ci_u32 s26, s26, s17
	s_wait_alu 0xfffe
	s_sub_co_u32 s28, s18, s16
	s_cselect_b32 s29, -1, 0
	s_delay_alu instid0(SALU_CYCLE_1) | instskip(SKIP_1) | instid1(SALU_CYCLE_1)
	s_cmp_lg_u32 s29, 0
	s_sub_co_ci_u32 s26, s26, 0
	s_cmp_ge_u32 s26, s17
	s_cselect_b32 s30, -1, 0
	s_cmp_ge_u32 s28, s16
	s_add_nc_u64 s[28:29], s[24:25], 1
	s_cselect_b32 s31, -1, 0
	s_cmp_eq_u32 s26, s17
	s_cselect_b32 s26, s31, s30
	s_add_nc_u64 s[30:31], s[24:25], 2
	s_cmp_lg_u32 s26, 0
	s_cselect_b32 s26, s30, s28
	s_cselect_b32 s28, s31, s29
	s_cmp_lg_u32 s22, 0
	s_sub_co_ci_u32 s22, s23, s27
	s_delay_alu instid0(SALU_CYCLE_1)
	s_cmp_ge_u32 s22, s17
	s_cselect_b32 s23, -1, 0
	s_cmp_ge_u32 s18, s16
	s_cselect_b32 s16, -1, 0
	s_cmp_eq_u32 s22, s17
	s_cselect_b32 s16, s16, s23
	s_delay_alu instid0(SALU_CYCLE_1) | instskip(SKIP_3) | instid1(SALU_CYCLE_1)
	s_cmp_lg_u32 s16, 0
	s_cselect_b32 s17, s28, s25
	s_cselect_b32 s16, s26, s24
	s_xor_b64 s[14:15], s[20:21], s[14:15]
	s_xor_b64 s[16:17], s[16:17], s[14:15]
	s_delay_alu instid0(SALU_CYCLE_1)
	s_sub_nc_u64 s[14:15], s[16:17], s[14:15]
	s_cbranch_execnz .LBB25_4
.LBB25_3:
	v_cvt_f32_u32_e32 v1, s10
	s_sub_co_i32 s15, 0, s10
	s_delay_alu instid0(VALU_DEP_1) | instskip(NEXT) | instid1(TRANS32_DEP_1)
	v_rcp_iflag_f32_e32 v1, v1
	v_mul_f32_e32 v1, 0x4f7ffffe, v1
	s_delay_alu instid0(VALU_DEP_1) | instskip(NEXT) | instid1(VALU_DEP_1)
	v_cvt_u32_f32_e32 v1, v1
	v_readfirstlane_b32 s14, v1
	s_mul_i32 s15, s15, s14
	s_delay_alu instid0(SALU_CYCLE_1) | instskip(NEXT) | instid1(SALU_CYCLE_1)
	s_mul_hi_u32 s15, s14, s15
	s_add_co_i32 s14, s14, s15
	s_delay_alu instid0(SALU_CYCLE_1) | instskip(NEXT) | instid1(SALU_CYCLE_1)
	s_mul_hi_u32 s14, s2, s14
	s_mul_i32 s15, s14, s10
	s_add_co_i32 s16, s14, 1
	s_sub_co_i32 s15, s2, s15
	s_delay_alu instid0(SALU_CYCLE_1)
	s_sub_co_i32 s17, s15, s10
	s_cmp_ge_u32 s15, s10
	s_cselect_b32 s14, s16, s14
	s_cselect_b32 s15, s17, s15
	s_add_co_i32 s16, s14, 1
	s_cmp_ge_u32 s15, s10
	s_mov_b32 s15, 0
	s_cselect_b32 s14, s16, s14
.LBB25_4:
	s_clause 0x1
	s_load_b64 s[16:17], s[0:1], 0x10
	s_load_b64 s[18:19], s[0:1], 0x40
	s_mul_u64 s[10:11], s[14:15], s[10:11]
	s_wait_alu 0xfffe
	s_sub_nc_u64 s[10:11], s[2:3], s[10:11]
	s_mov_b32 s3, exec_lo
	v_cmpx_gt_i32_e64 s8, v0
	s_cbranch_execz .LBB25_7
; %bb.5:
	s_clause 0x1
	s_load_b64 s[22:23], s[0:1], 0x0
	s_load_b32 s2, s[0:1], 0x54
	s_wait_kmcnt 0x0
	s_load_b32 s24, s[18:19], 0x0
	s_ashr_i32 s21, s6, 31
	s_mov_b32 s20, s6
	s_ashr_i32 s27, s4, 31
	s_mov_b32 s26, s4
	;; [unrolled: 2-line block ×3, first 2 shown]
	s_mul_u64 s[20:21], s[20:21], s[12:13]
	s_mul_u64 s[26:27], s[14:15], s[26:27]
	v_mov_b32_e32 v1, v0
	s_mul_u64 s[28:29], s[10:11], s[28:29]
	s_add_nc_u64 s[26:27], s[16:17], s[26:27]
	s_lshl_b64 s[30:31], s[20:21], 1
	s_mov_b32 s6, 0
	s_add_nc_u64 s[20:21], s[26:27], s[28:29]
	s_mov_b32 s26, 0x43e00000
	s_add_nc_u64 s[22:23], s[22:23], s[30:31]
	s_and_b32 s25, s2, 0xffff
.LBB25_6:                               ; =>This Inner Loop Header: Depth=1
	v_ashrrev_i32_e32 v2, 31, v1
	s_delay_alu instid0(VALU_DEP_1) | instskip(NEXT) | instid1(VALU_DEP_1)
	v_lshlrev_b64_e32 v[3:4], 1, v[1:2]
	v_add_co_u32 v3, vcc_lo, s22, v3
	s_wait_alu 0xfffd
	s_delay_alu instid0(VALU_DEP_2) | instskip(SKIP_4) | instid1(VALU_DEP_1)
	v_add_co_ci_u32_e64 v4, null, s23, v4, vcc_lo
	global_load_u16 v3, v[3:4], off
	s_wait_loadcnt 0x0
	v_lshlrev_b32_e32 v3, 16, v3
	s_wait_kmcnt 0x0
	v_div_scale_f32 v4, null, s24, s24, v3
	v_div_scale_f32 v7, vcc_lo, v3, s24, v3
	s_delay_alu instid0(VALU_DEP_2) | instskip(NEXT) | instid1(TRANS32_DEP_1)
	v_rcp_f32_e32 v5, v4
	v_fma_f32 v6, -v4, v5, 1.0
	s_delay_alu instid0(VALU_DEP_1) | instskip(NEXT) | instid1(VALU_DEP_1)
	v_fmac_f32_e32 v5, v6, v5
	v_mul_f32_e32 v6, v7, v5
	s_delay_alu instid0(VALU_DEP_1) | instskip(NEXT) | instid1(VALU_DEP_1)
	v_fma_f32 v8, -v4, v6, v7
	v_fmac_f32_e32 v6, v8, v5
	s_delay_alu instid0(VALU_DEP_1) | instskip(SKIP_1) | instid1(VALU_DEP_1)
	v_fma_f32 v4, -v4, v6, v7
	s_wait_alu 0xfffd
	v_div_fmas_f32 v4, v4, v5, v6
	v_mov_b32_e32 v5, 0
	s_delay_alu instid0(VALU_DEP_2) | instskip(SKIP_2) | instid1(VALU_DEP_3)
	v_div_fixup_f32 v4, v4, s24, v3
	v_add_co_u32 v3, vcc_lo, s20, v1
	v_add_nc_u32_e32 v1, s25, v1
	v_med3_num_f32 v6, v4, s26, 0xc3e00000
	v_cmp_nlg_f32_e64 s2, 0x7f800000, |v4|
	s_wait_alu 0xf1ff
	s_delay_alu instid0(VALU_DEP_1) | instskip(SKIP_1) | instid1(VALU_DEP_2)
	v_cndmask_b32_e64 v4, v6, v4, s2
	v_cmp_le_i32_e64 s2, s8, v1
	v_cvt_pk_fp8_f32 v5, v4, v4
	s_wait_alu 0xfffd
	v_add_co_ci_u32_e64 v4, null, s21, v2, vcc_lo
	s_or_b32 s6, s2, s6
	global_store_b8 v[3:4], v5, off
	s_and_not1_b32 exec_lo, exec_lo, s6
	s_cbranch_execnz .LBB25_6
.LBB25_7:
	s_wait_alu 0xfffe
	s_or_b32 exec_lo, exec_lo, s3
	s_load_b64 s[2:3], s[0:1], 0x8
	s_mov_b32 s6, exec_lo
	v_cmpx_gt_i32_e64 s9, v0
	s_cbranch_execz .LBB25_10
; %bb.8:
	s_load_b32 s0, s[0:1], 0x54
	s_wait_kmcnt 0x0
	s_load_b32 s1, s[18:19], 0x0
	s_ashr_i32 s19, s4, 31
	s_mov_b32 s18, s4
	s_ashr_i32 s21, s7, 31
	s_mov_b32 s20, s7
	s_ashr_i32 s23, s5, 31
	s_mov_b32 s22, s5
	s_wait_alu 0xfffe
	s_mul_u64 s[14:15], s[14:15], s[18:19]
	s_mul_u64 s[12:13], s[20:21], s[12:13]
	;; [unrolled: 1-line block ×3, first 2 shown]
	s_add_nc_u64 s[14:15], s[16:17], s[14:15]
	s_ashr_i32 s5, s8, 31
	s_mov_b32 s4, s8
	s_lshl_b64 s[12:13], s[12:13], 1
	s_wait_alu 0xfffe
	s_add_nc_u64 s[10:11], s[14:15], s[10:11]
	s_mov_b32 s6, 0
	s_add_nc_u64 s[2:3], s[2:3], s[12:13]
	s_wait_alu 0xfffe
	s_add_nc_u64 s[4:5], s[10:11], s[4:5]
	s_mov_b32 s8, 0x43e00000
	s_and_b32 s7, s0, 0xffff
.LBB25_9:                               ; =>This Inner Loop Header: Depth=1
	v_ashrrev_i32_e32 v1, 31, v0
	s_delay_alu instid0(VALU_DEP_1) | instskip(NEXT) | instid1(VALU_DEP_1)
	v_lshlrev_b64_e32 v[2:3], 1, v[0:1]
	v_add_co_u32 v2, vcc_lo, s2, v2
	s_wait_alu 0xfffd
	s_delay_alu instid0(VALU_DEP_2) | instskip(SKIP_4) | instid1(VALU_DEP_1)
	v_add_co_ci_u32_e64 v3, null, s3, v3, vcc_lo
	global_load_u16 v2, v[2:3], off
	s_wait_loadcnt 0x0
	v_lshlrev_b32_e32 v2, 16, v2
	s_wait_kmcnt 0x0
	v_div_scale_f32 v3, null, s1, s1, v2
	v_div_scale_f32 v6, vcc_lo, v2, s1, v2
	s_delay_alu instid0(VALU_DEP_2) | instskip(NEXT) | instid1(TRANS32_DEP_1)
	v_rcp_f32_e32 v4, v3
	v_fma_f32 v5, -v3, v4, 1.0
	s_delay_alu instid0(VALU_DEP_1) | instskip(NEXT) | instid1(VALU_DEP_1)
	v_fmac_f32_e32 v4, v5, v4
	v_mul_f32_e32 v5, v6, v4
	s_delay_alu instid0(VALU_DEP_1) | instskip(NEXT) | instid1(VALU_DEP_1)
	v_fma_f32 v7, -v3, v5, v6
	v_fmac_f32_e32 v5, v7, v4
	s_delay_alu instid0(VALU_DEP_1) | instskip(SKIP_1) | instid1(VALU_DEP_1)
	v_fma_f32 v3, -v3, v5, v6
	s_wait_alu 0xfffd
	v_div_fmas_f32 v3, v3, v4, v5
	v_mov_b32_e32 v4, 0
	s_delay_alu instid0(VALU_DEP_2) | instskip(SKIP_3) | instid1(VALU_DEP_3)
	v_div_fixup_f32 v3, v3, s1, v2
	v_add_co_u32 v2, vcc_lo, s4, v0
	v_add_nc_u32_e32 v0, s7, v0
	s_wait_alu 0xfffe
	v_med3_num_f32 v5, v3, s8, 0xc3e00000
	v_cmp_nlg_f32_e64 s0, 0x7f800000, |v3|
	s_wait_alu 0xf1ff
	s_delay_alu instid0(VALU_DEP_1) | instskip(SKIP_1) | instid1(VALU_DEP_2)
	v_cndmask_b32_e64 v3, v5, v3, s0
	v_cmp_le_i32_e64 s0, s9, v0
	v_cvt_pk_fp8_f32 v4, v3, v3
	s_wait_alu 0xfffd
	v_add_co_ci_u32_e64 v3, null, s5, v1, vcc_lo
	s_or_b32 s6, s0, s6
	global_store_b8 v[2:3], v4, off
	s_wait_alu 0xfffe
	s_and_not1_b32 exec_lo, exec_lo, s6
	s_cbranch_execnz .LBB25_9
.LBB25_10:
	s_endpgm
.LBB25_11:
                                        ; implicit-def: $sgpr14_sgpr15
	s_branch .LBB25_3
	.section	.rodata,"a",@progbits
	.p2align	6, 0x0
	.amdhsa_kernel _ZN4vllm27concat_and_cache_mla_kernelI14__hip_bfloat16hLNS_18Fp8KVCacheDataTypeE1EEEvPKT_S5_PT0_PKliiiiiiiPKf
		.amdhsa_group_segment_fixed_size 0
		.amdhsa_private_segment_fixed_size 0
		.amdhsa_kernarg_size 328
		.amdhsa_user_sgpr_count 2
		.amdhsa_user_sgpr_dispatch_ptr 0
		.amdhsa_user_sgpr_queue_ptr 0
		.amdhsa_user_sgpr_kernarg_segment_ptr 1
		.amdhsa_user_sgpr_dispatch_id 0
		.amdhsa_user_sgpr_private_segment_size 0
		.amdhsa_wavefront_size32 1
		.amdhsa_uses_dynamic_stack 0
		.amdhsa_enable_private_segment 0
		.amdhsa_system_sgpr_workgroup_id_x 1
		.amdhsa_system_sgpr_workgroup_id_y 0
		.amdhsa_system_sgpr_workgroup_id_z 0
		.amdhsa_system_sgpr_workgroup_info 0
		.amdhsa_system_vgpr_workitem_id 0
		.amdhsa_next_free_vgpr 9
		.amdhsa_next_free_sgpr 32
		.amdhsa_reserve_vcc 1
		.amdhsa_float_round_mode_32 0
		.amdhsa_float_round_mode_16_64 0
		.amdhsa_float_denorm_mode_32 3
		.amdhsa_float_denorm_mode_16_64 3
		.amdhsa_fp16_overflow 0
		.amdhsa_workgroup_processor_mode 1
		.amdhsa_memory_ordered 1
		.amdhsa_forward_progress 1
		.amdhsa_inst_pref_size 13
		.amdhsa_round_robin_scheduling 0
		.amdhsa_exception_fp_ieee_invalid_op 0
		.amdhsa_exception_fp_denorm_src 0
		.amdhsa_exception_fp_ieee_div_zero 0
		.amdhsa_exception_fp_ieee_overflow 0
		.amdhsa_exception_fp_ieee_underflow 0
		.amdhsa_exception_fp_ieee_inexact 0
		.amdhsa_exception_int_div_zero 0
	.end_amdhsa_kernel
	.section	.text._ZN4vllm27concat_and_cache_mla_kernelI14__hip_bfloat16hLNS_18Fp8KVCacheDataTypeE1EEEvPKT_S5_PT0_PKliiiiiiiPKf,"axG",@progbits,_ZN4vllm27concat_and_cache_mla_kernelI14__hip_bfloat16hLNS_18Fp8KVCacheDataTypeE1EEEvPKT_S5_PT0_PKliiiiiiiPKf,comdat
.Lfunc_end25:
	.size	_ZN4vllm27concat_and_cache_mla_kernelI14__hip_bfloat16hLNS_18Fp8KVCacheDataTypeE1EEEvPKT_S5_PT0_PKliiiiiiiPKf, .Lfunc_end25-_ZN4vllm27concat_and_cache_mla_kernelI14__hip_bfloat16hLNS_18Fp8KVCacheDataTypeE1EEEvPKT_S5_PT0_PKliiiiiiiPKf
                                        ; -- End function
	.set _ZN4vllm27concat_and_cache_mla_kernelI14__hip_bfloat16hLNS_18Fp8KVCacheDataTypeE1EEEvPKT_S5_PT0_PKliiiiiiiPKf.num_vgpr, 9
	.set _ZN4vllm27concat_and_cache_mla_kernelI14__hip_bfloat16hLNS_18Fp8KVCacheDataTypeE1EEEvPKT_S5_PT0_PKliiiiiiiPKf.num_agpr, 0
	.set _ZN4vllm27concat_and_cache_mla_kernelI14__hip_bfloat16hLNS_18Fp8KVCacheDataTypeE1EEEvPKT_S5_PT0_PKliiiiiiiPKf.numbered_sgpr, 32
	.set _ZN4vllm27concat_and_cache_mla_kernelI14__hip_bfloat16hLNS_18Fp8KVCacheDataTypeE1EEEvPKT_S5_PT0_PKliiiiiiiPKf.num_named_barrier, 0
	.set _ZN4vllm27concat_and_cache_mla_kernelI14__hip_bfloat16hLNS_18Fp8KVCacheDataTypeE1EEEvPKT_S5_PT0_PKliiiiiiiPKf.private_seg_size, 0
	.set _ZN4vllm27concat_and_cache_mla_kernelI14__hip_bfloat16hLNS_18Fp8KVCacheDataTypeE1EEEvPKT_S5_PT0_PKliiiiiiiPKf.uses_vcc, 1
	.set _ZN4vllm27concat_and_cache_mla_kernelI14__hip_bfloat16hLNS_18Fp8KVCacheDataTypeE1EEEvPKT_S5_PT0_PKliiiiiiiPKf.uses_flat_scratch, 0
	.set _ZN4vllm27concat_and_cache_mla_kernelI14__hip_bfloat16hLNS_18Fp8KVCacheDataTypeE1EEEvPKT_S5_PT0_PKliiiiiiiPKf.has_dyn_sized_stack, 0
	.set _ZN4vllm27concat_and_cache_mla_kernelI14__hip_bfloat16hLNS_18Fp8KVCacheDataTypeE1EEEvPKT_S5_PT0_PKliiiiiiiPKf.has_recursion, 0
	.set _ZN4vllm27concat_and_cache_mla_kernelI14__hip_bfloat16hLNS_18Fp8KVCacheDataTypeE1EEEvPKT_S5_PT0_PKliiiiiiiPKf.has_indirect_call, 0
	.section	.AMDGPU.csdata,"",@progbits
; Kernel info:
; codeLenInByte = 1608
; TotalNumSgprs: 34
; NumVgprs: 9
; ScratchSize: 0
; MemoryBound: 0
; FloatMode: 240
; IeeeMode: 1
; LDSByteSize: 0 bytes/workgroup (compile time only)
; SGPRBlocks: 0
; VGPRBlocks: 1
; NumSGPRsForWavesPerEU: 34
; NumVGPRsForWavesPerEU: 9
; Occupancy: 16
; WaveLimiterHint : 1
; COMPUTE_PGM_RSRC2:SCRATCH_EN: 0
; COMPUTE_PGM_RSRC2:USER_SGPR: 2
; COMPUTE_PGM_RSRC2:TRAP_HANDLER: 0
; COMPUTE_PGM_RSRC2:TGID_X_EN: 1
; COMPUTE_PGM_RSRC2:TGID_Y_EN: 0
; COMPUTE_PGM_RSRC2:TGID_Z_EN: 0
; COMPUTE_PGM_RSRC2:TIDIG_COMP_CNT: 0
	.text
	.p2align	2                               ; -- Begin function __ockl_fprintf_append_string_n
	.type	__ockl_fprintf_append_string_n,@function
__ockl_fprintf_append_string_n:         ; @__ockl_fprintf_append_string_n
; %bb.0:
	s_wait_loadcnt_dscnt 0x0
	s_wait_expcnt 0x0
	s_wait_samplecnt 0x0
	s_wait_bvhcnt 0x0
	s_wait_kmcnt 0x0
	v_or_b32_e32 v2, 2, v0
	v_cmp_eq_u32_e32 vcc_lo, 0, v6
	v_mbcnt_lo_u32_b32 v37, -1, 0
	s_getpc_b64 s[0:1]
	s_wait_alu 0xfffe
	s_sext_i32_i16 s1, s1
	s_add_co_u32 s0, s0, .str@rel32@lo+12
	s_wait_alu 0xfffe
	s_add_co_ci_u32 s1, s1, .str@rel32@hi+24
	s_mov_b32 s6, 0
	s_wait_alu 0xfffe
	s_cmp_lg_u64 s[0:1], 0
	s_wait_alu 0xfffd
	v_cndmask_b32_e32 v36, v2, v0, vcc_lo
	s_cbranch_scc0 .LBB26_113
; %bb.1:
	s_load_b64 s[2:3], s[8:9], 0x50
	s_getpc_b64 s[0:1]
	s_wait_alu 0xfffe
	s_sext_i32_i16 s1, s1
	s_add_co_u32 s0, s0, .str@rel32@lo+12
	s_wait_alu 0xfffe
	s_add_co_ci_u32 s1, s1, .str@rel32@hi+24
	s_wait_alu 0xfffe
	v_dual_mov_b32 v3, s1 :: v_dual_and_b32 v0, -3, v36
	v_dual_mov_b32 v8, 2 :: v_dual_mov_b32 v11, v1
	v_dual_mov_b32 v7, 0 :: v_dual_and_b32 v38, 2, v36
	v_dual_mov_b32 v2, s0 :: v_dual_mov_b32 v9, 1
	s_delay_alu instid0(VALU_DEP_4)
	v_mov_b32_e32 v10, v0
	s_mov_b32 s7, 0
	s_branch .LBB26_3
.LBB26_2:                               ;   in Loop: Header=BB26_3 Depth=1
	s_wait_alu 0xfffe
	s_or_b32 exec_lo, exec_lo, s10
	v_sub_co_u32 v4, vcc_lo, v4, v30
	s_wait_alu 0xfffd
	v_sub_co_ci_u32_e64 v5, null, v5, v31, vcc_lo
	v_add_co_u32 v2, s0, v2, v30
	s_wait_alu 0xf1ff
	v_add_co_ci_u32_e64 v3, null, v3, v31, s0
	s_delay_alu instid0(VALU_DEP_3)
	v_cmp_eq_u64_e32 vcc_lo, 0, v[4:5]
	s_or_b32 s7, vcc_lo, s7
	s_wait_alu 0xfffe
	s_and_not1_b32 exec_lo, exec_lo, s7
	s_cbranch_execz .LBB26_85
.LBB26_3:                               ; =>This Loop Header: Depth=1
                                        ;     Child Loop BB26_6 Depth 2
                                        ;     Child Loop BB26_14 Depth 2
	;; [unrolled: 1-line block ×11, first 2 shown]
	v_cmp_gt_u64_e32 vcc_lo, 56, v[4:5]
	s_mov_b32 s1, exec_lo
	s_wait_alu 0xfffd
	v_dual_cndmask_b32 v31, 0, v5 :: v_dual_cndmask_b32 v30, 56, v4
	v_add_co_u32 v16, vcc_lo, v2, 8
	s_wait_alu 0xfffd
	v_add_co_ci_u32_e64 v17, null, 0, v3, vcc_lo
	v_cmpx_gt_u64_e32 8, v[4:5]
	s_wait_alu 0xfffe
	s_xor_b32 s1, exec_lo, s1
	s_cbranch_execz .LBB26_9
; %bb.4:                                ;   in Loop: Header=BB26_3 Depth=1
	s_wait_loadcnt 0x0
	v_mov_b32_e32 v12, 0
	v_mov_b32_e32 v13, 0
	s_mov_b32 s10, exec_lo
	v_cmpx_ne_u64_e32 0, v[4:5]
	s_cbranch_execz .LBB26_8
; %bb.5:                                ;   in Loop: Header=BB26_3 Depth=1
	v_lshlrev_b64_e32 v[14:15], 3, v[30:31]
	v_mov_b32_e32 v12, 0
	v_dual_mov_b32 v13, 0 :: v_dual_mov_b32 v16, v3
	v_mov_b32_e32 v15, v2
	s_mov_b64 s[4:5], 0
	s_mov_b32 s11, 0
.LBB26_6:                               ;   Parent Loop BB26_3 Depth=1
                                        ; =>  This Inner Loop Header: Depth=2
	global_load_u8 v0, v[15:16], off
	v_mov_b32_e32 v18, s6
	v_add_co_u32 v15, vcc_lo, v15, 1
	s_wait_alu 0xfffd
	v_add_co_ci_u32_e64 v16, null, 0, v16, vcc_lo
	s_wait_loadcnt 0x0
	v_and_b32_e32 v17, 0xffff, v0
	s_wait_alu 0xfffe
	s_delay_alu instid0(VALU_DEP_1) | instskip(SKIP_3) | instid1(VALU_DEP_2)
	v_lshlrev_b64_e32 v[17:18], s4, v[17:18]
	s_add_nc_u64 s[4:5], s[4:5], 8
	s_wait_alu 0xfffe
	v_cmp_eq_u32_e64 s0, s4, v14
	v_or_b32_e32 v13, v18, v13
	s_delay_alu instid0(VALU_DEP_3)
	v_or_b32_e32 v12, v17, v12
	s_or_b32 s11, s0, s11
	s_wait_alu 0xfffe
	s_and_not1_b32 exec_lo, exec_lo, s11
	s_cbranch_execnz .LBB26_6
; %bb.7:                                ;   in Loop: Header=BB26_3 Depth=1
	s_or_b32 exec_lo, exec_lo, s11
.LBB26_8:                               ;   in Loop: Header=BB26_3 Depth=1
	s_wait_alu 0xfffe
	s_or_b32 exec_lo, exec_lo, s10
	v_dual_mov_b32 v17, v3 :: v_dual_mov_b32 v16, v2
.LBB26_9:                               ;   in Loop: Header=BB26_3 Depth=1
	s_wait_alu 0xfffe
	s_or_saveexec_b32 s0, s1
	v_mov_b32_e32 v0, 0
	s_wait_alu 0xfffe
	s_xor_b32 exec_lo, exec_lo, s0
	s_cbranch_execz .LBB26_11
; %bb.10:                               ;   in Loop: Header=BB26_3 Depth=1
	s_wait_loadcnt 0x0
	global_load_b64 v[12:13], v[2:3], off
	v_add_nc_u32_e32 v0, -8, v30
.LBB26_11:                              ;   in Loop: Header=BB26_3 Depth=1
	s_or_b32 exec_lo, exec_lo, s0
	v_add_co_u32 v18, s0, v16, 8
	s_wait_alu 0xf1ff
	v_add_co_ci_u32_e64 v19, null, 0, v17, s0
                                        ; implicit-def: $vgpr14_vgpr15
	s_mov_b32 s0, exec_lo
	v_cmpx_gt_u32_e32 8, v0
	s_wait_alu 0xfffe
	s_xor_b32 s10, exec_lo, s0
	s_cbranch_execz .LBB26_17
; %bb.12:                               ;   in Loop: Header=BB26_3 Depth=1
	v_mov_b32_e32 v14, 0
	v_mov_b32_e32 v15, 0
	s_mov_b32 s11, exec_lo
	v_cmpx_ne_u32_e32 0, v0
	s_cbranch_execz .LBB26_16
; %bb.13:                               ;   in Loop: Header=BB26_3 Depth=1
	v_mov_b32_e32 v14, 0
	v_mov_b32_e32 v15, 0
	s_mov_b64 s[0:1], 0
	s_mov_b32 s12, 0
	s_mov_b64 s[4:5], 0
.LBB26_14:                              ;   Parent Loop BB26_3 Depth=1
                                        ; =>  This Inner Loop Header: Depth=2
	s_wait_alu 0xfffe
	v_add_co_u32 v18, vcc_lo, v16, s4
	s_wait_alu 0xfffd
	v_add_co_ci_u32_e64 v19, null, s5, v17, vcc_lo
	s_add_nc_u64 s[4:5], s[4:5], 1
	s_wait_alu 0xfffe
	v_cmp_eq_u32_e32 vcc_lo, s4, v0
	global_load_u8 v6, v[18:19], off
	v_mov_b32_e32 v19, s6
	s_or_b32 s12, vcc_lo, s12
	s_wait_loadcnt 0x0
	v_and_b32_e32 v18, 0xffff, v6
	s_delay_alu instid0(VALU_DEP_1) | instskip(SKIP_1) | instid1(VALU_DEP_1)
	v_lshlrev_b64_e32 v[18:19], s0, v[18:19]
	s_add_nc_u64 s[0:1], s[0:1], 8
	v_or_b32_e32 v15, v19, v15
	s_delay_alu instid0(VALU_DEP_2)
	v_or_b32_e32 v14, v18, v14
	s_wait_alu 0xfffe
	s_and_not1_b32 exec_lo, exec_lo, s12
	s_cbranch_execnz .LBB26_14
; %bb.15:                               ;   in Loop: Header=BB26_3 Depth=1
	s_or_b32 exec_lo, exec_lo, s12
.LBB26_16:                              ;   in Loop: Header=BB26_3 Depth=1
	s_wait_alu 0xfffe
	s_or_b32 exec_lo, exec_lo, s11
	v_dual_mov_b32 v19, v17 :: v_dual_mov_b32 v18, v16
                                        ; implicit-def: $vgpr0
.LBB26_17:                              ;   in Loop: Header=BB26_3 Depth=1
	s_wait_alu 0xfffe
	s_or_saveexec_b32 s0, s10
	v_mov_b32_e32 v6, 0
	s_wait_alu 0xfffe
	s_xor_b32 exec_lo, exec_lo, s0
	s_cbranch_execz .LBB26_19
; %bb.18:                               ;   in Loop: Header=BB26_3 Depth=1
	global_load_b64 v[14:15], v[16:17], off
	v_add_nc_u32_e32 v6, -8, v0
.LBB26_19:                              ;   in Loop: Header=BB26_3 Depth=1
	s_or_b32 exec_lo, exec_lo, s0
	v_add_co_u32 v20, s0, v18, 8
	s_wait_alu 0xf1ff
	v_add_co_ci_u32_e64 v21, null, 0, v19, s0
	s_mov_b32 s0, exec_lo
	v_cmpx_gt_u32_e32 8, v6
	s_wait_alu 0xfffe
	s_xor_b32 s10, exec_lo, s0
	s_cbranch_execz .LBB26_25
; %bb.20:                               ;   in Loop: Header=BB26_3 Depth=1
	v_mov_b32_e32 v16, 0
	v_mov_b32_e32 v17, 0
	s_mov_b32 s11, exec_lo
	v_cmpx_ne_u32_e32 0, v6
	s_cbranch_execz .LBB26_24
; %bb.21:                               ;   in Loop: Header=BB26_3 Depth=1
	v_mov_b32_e32 v16, 0
	v_mov_b32_e32 v17, 0
	s_mov_b64 s[0:1], 0
	s_mov_b32 s12, 0
	s_mov_b64 s[4:5], 0
.LBB26_22:                              ;   Parent Loop BB26_3 Depth=1
                                        ; =>  This Inner Loop Header: Depth=2
	s_wait_alu 0xfffe
	v_add_co_u32 v20, vcc_lo, v18, s4
	s_wait_alu 0xfffd
	v_add_co_ci_u32_e64 v21, null, s5, v19, vcc_lo
	s_add_nc_u64 s[4:5], s[4:5], 1
	s_wait_alu 0xfffe
	v_cmp_eq_u32_e32 vcc_lo, s4, v6
	global_load_u8 v0, v[20:21], off
	v_mov_b32_e32 v21, s6
	s_or_b32 s12, vcc_lo, s12
	s_wait_loadcnt 0x0
	v_and_b32_e32 v20, 0xffff, v0
	s_delay_alu instid0(VALU_DEP_1) | instskip(SKIP_1) | instid1(VALU_DEP_1)
	v_lshlrev_b64_e32 v[20:21], s0, v[20:21]
	s_add_nc_u64 s[0:1], s[0:1], 8
	v_or_b32_e32 v17, v21, v17
	s_delay_alu instid0(VALU_DEP_2)
	v_or_b32_e32 v16, v20, v16
	s_wait_alu 0xfffe
	s_and_not1_b32 exec_lo, exec_lo, s12
	s_cbranch_execnz .LBB26_22
; %bb.23:                               ;   in Loop: Header=BB26_3 Depth=1
	s_or_b32 exec_lo, exec_lo, s12
.LBB26_24:                              ;   in Loop: Header=BB26_3 Depth=1
	s_wait_alu 0xfffe
	s_or_b32 exec_lo, exec_lo, s11
	v_dual_mov_b32 v21, v19 :: v_dual_mov_b32 v20, v18
                                        ; implicit-def: $vgpr6
.LBB26_25:                              ;   in Loop: Header=BB26_3 Depth=1
	s_wait_alu 0xfffe
	s_or_saveexec_b32 s0, s10
	v_mov_b32_e32 v0, 0
	s_wait_alu 0xfffe
	s_xor_b32 exec_lo, exec_lo, s0
	s_cbranch_execz .LBB26_27
; %bb.26:                               ;   in Loop: Header=BB26_3 Depth=1
	global_load_b64 v[16:17], v[18:19], off
	v_add_nc_u32_e32 v0, -8, v6
.LBB26_27:                              ;   in Loop: Header=BB26_3 Depth=1
	s_or_b32 exec_lo, exec_lo, s0
	v_add_co_u32 v22, s0, v20, 8
	s_wait_alu 0xf1ff
	v_add_co_ci_u32_e64 v23, null, 0, v21, s0
                                        ; implicit-def: $vgpr18_vgpr19
	s_mov_b32 s0, exec_lo
	v_cmpx_gt_u32_e32 8, v0
	s_wait_alu 0xfffe
	s_xor_b32 s10, exec_lo, s0
	s_cbranch_execz .LBB26_33
; %bb.28:                               ;   in Loop: Header=BB26_3 Depth=1
	v_mov_b32_e32 v18, 0
	v_mov_b32_e32 v19, 0
	s_mov_b32 s11, exec_lo
	v_cmpx_ne_u32_e32 0, v0
	s_cbranch_execz .LBB26_32
; %bb.29:                               ;   in Loop: Header=BB26_3 Depth=1
	v_mov_b32_e32 v18, 0
	v_mov_b32_e32 v19, 0
	s_mov_b64 s[0:1], 0
	s_mov_b32 s12, 0
	s_mov_b64 s[4:5], 0
.LBB26_30:                              ;   Parent Loop BB26_3 Depth=1
                                        ; =>  This Inner Loop Header: Depth=2
	s_wait_alu 0xfffe
	v_add_co_u32 v22, vcc_lo, v20, s4
	s_wait_alu 0xfffd
	v_add_co_ci_u32_e64 v23, null, s5, v21, vcc_lo
	s_add_nc_u64 s[4:5], s[4:5], 1
	s_wait_alu 0xfffe
	v_cmp_eq_u32_e32 vcc_lo, s4, v0
	global_load_u8 v6, v[22:23], off
	v_mov_b32_e32 v23, s6
	s_or_b32 s12, vcc_lo, s12
	s_wait_loadcnt 0x0
	v_and_b32_e32 v22, 0xffff, v6
	s_delay_alu instid0(VALU_DEP_1) | instskip(SKIP_1) | instid1(VALU_DEP_1)
	v_lshlrev_b64_e32 v[22:23], s0, v[22:23]
	s_add_nc_u64 s[0:1], s[0:1], 8
	v_or_b32_e32 v19, v23, v19
	s_delay_alu instid0(VALU_DEP_2)
	v_or_b32_e32 v18, v22, v18
	s_wait_alu 0xfffe
	s_and_not1_b32 exec_lo, exec_lo, s12
	s_cbranch_execnz .LBB26_30
; %bb.31:                               ;   in Loop: Header=BB26_3 Depth=1
	s_or_b32 exec_lo, exec_lo, s12
.LBB26_32:                              ;   in Loop: Header=BB26_3 Depth=1
	s_wait_alu 0xfffe
	s_or_b32 exec_lo, exec_lo, s11
	v_dual_mov_b32 v23, v21 :: v_dual_mov_b32 v22, v20
                                        ; implicit-def: $vgpr0
.LBB26_33:                              ;   in Loop: Header=BB26_3 Depth=1
	s_wait_alu 0xfffe
	s_or_saveexec_b32 s0, s10
	v_mov_b32_e32 v6, 0
	s_wait_alu 0xfffe
	s_xor_b32 exec_lo, exec_lo, s0
	s_cbranch_execz .LBB26_35
; %bb.34:                               ;   in Loop: Header=BB26_3 Depth=1
	global_load_b64 v[18:19], v[20:21], off
	v_add_nc_u32_e32 v6, -8, v0
.LBB26_35:                              ;   in Loop: Header=BB26_3 Depth=1
	s_or_b32 exec_lo, exec_lo, s0
	v_add_co_u32 v24, s0, v22, 8
	s_wait_alu 0xf1ff
	v_add_co_ci_u32_e64 v25, null, 0, v23, s0
	s_mov_b32 s0, exec_lo
	v_cmpx_gt_u32_e32 8, v6
	s_wait_alu 0xfffe
	s_xor_b32 s10, exec_lo, s0
	s_cbranch_execz .LBB26_41
; %bb.36:                               ;   in Loop: Header=BB26_3 Depth=1
	v_mov_b32_e32 v20, 0
	v_mov_b32_e32 v21, 0
	s_mov_b32 s11, exec_lo
	v_cmpx_ne_u32_e32 0, v6
	s_cbranch_execz .LBB26_40
; %bb.37:                               ;   in Loop: Header=BB26_3 Depth=1
	v_mov_b32_e32 v20, 0
	v_mov_b32_e32 v21, 0
	s_mov_b64 s[0:1], 0
	s_mov_b32 s12, 0
	s_mov_b64 s[4:5], 0
.LBB26_38:                              ;   Parent Loop BB26_3 Depth=1
                                        ; =>  This Inner Loop Header: Depth=2
	s_wait_alu 0xfffe
	v_add_co_u32 v24, vcc_lo, v22, s4
	s_wait_alu 0xfffd
	v_add_co_ci_u32_e64 v25, null, s5, v23, vcc_lo
	s_add_nc_u64 s[4:5], s[4:5], 1
	s_wait_alu 0xfffe
	v_cmp_eq_u32_e32 vcc_lo, s4, v6
	global_load_u8 v0, v[24:25], off
	v_mov_b32_e32 v25, s6
	s_or_b32 s12, vcc_lo, s12
	s_wait_loadcnt 0x0
	v_and_b32_e32 v24, 0xffff, v0
	s_delay_alu instid0(VALU_DEP_1) | instskip(SKIP_1) | instid1(VALU_DEP_1)
	v_lshlrev_b64_e32 v[24:25], s0, v[24:25]
	s_add_nc_u64 s[0:1], s[0:1], 8
	v_or_b32_e32 v21, v25, v21
	s_delay_alu instid0(VALU_DEP_2)
	v_or_b32_e32 v20, v24, v20
	s_wait_alu 0xfffe
	s_and_not1_b32 exec_lo, exec_lo, s12
	s_cbranch_execnz .LBB26_38
; %bb.39:                               ;   in Loop: Header=BB26_3 Depth=1
	s_or_b32 exec_lo, exec_lo, s12
.LBB26_40:                              ;   in Loop: Header=BB26_3 Depth=1
	s_wait_alu 0xfffe
	s_or_b32 exec_lo, exec_lo, s11
	v_dual_mov_b32 v25, v23 :: v_dual_mov_b32 v24, v22
                                        ; implicit-def: $vgpr6
.LBB26_41:                              ;   in Loop: Header=BB26_3 Depth=1
	s_wait_alu 0xfffe
	s_or_saveexec_b32 s0, s10
	v_mov_b32_e32 v0, 0
	s_wait_alu 0xfffe
	s_xor_b32 exec_lo, exec_lo, s0
	s_cbranch_execz .LBB26_43
; %bb.42:                               ;   in Loop: Header=BB26_3 Depth=1
	global_load_b64 v[20:21], v[22:23], off
	v_add_nc_u32_e32 v0, -8, v6
.LBB26_43:                              ;   in Loop: Header=BB26_3 Depth=1
	s_or_b32 exec_lo, exec_lo, s0
	v_add_co_u32 v26, s0, v24, 8
	s_wait_alu 0xf1ff
	v_add_co_ci_u32_e64 v27, null, 0, v25, s0
                                        ; implicit-def: $vgpr22_vgpr23
	s_mov_b32 s0, exec_lo
	v_cmpx_gt_u32_e32 8, v0
	s_wait_alu 0xfffe
	s_xor_b32 s10, exec_lo, s0
	s_cbranch_execz .LBB26_49
; %bb.44:                               ;   in Loop: Header=BB26_3 Depth=1
	v_mov_b32_e32 v22, 0
	v_mov_b32_e32 v23, 0
	s_mov_b32 s11, exec_lo
	v_cmpx_ne_u32_e32 0, v0
	s_cbranch_execz .LBB26_48
; %bb.45:                               ;   in Loop: Header=BB26_3 Depth=1
	v_mov_b32_e32 v22, 0
	v_mov_b32_e32 v23, 0
	s_mov_b64 s[0:1], 0
	s_mov_b32 s12, 0
	s_mov_b64 s[4:5], 0
.LBB26_46:                              ;   Parent Loop BB26_3 Depth=1
                                        ; =>  This Inner Loop Header: Depth=2
	s_wait_alu 0xfffe
	v_add_co_u32 v26, vcc_lo, v24, s4
	s_wait_alu 0xfffd
	v_add_co_ci_u32_e64 v27, null, s5, v25, vcc_lo
	s_add_nc_u64 s[4:5], s[4:5], 1
	s_wait_alu 0xfffe
	v_cmp_eq_u32_e32 vcc_lo, s4, v0
	global_load_u8 v6, v[26:27], off
	v_mov_b32_e32 v27, s6
	s_or_b32 s12, vcc_lo, s12
	s_wait_loadcnt 0x0
	v_and_b32_e32 v26, 0xffff, v6
	s_delay_alu instid0(VALU_DEP_1) | instskip(SKIP_1) | instid1(VALU_DEP_1)
	v_lshlrev_b64_e32 v[26:27], s0, v[26:27]
	s_add_nc_u64 s[0:1], s[0:1], 8
	v_or_b32_e32 v23, v27, v23
	s_delay_alu instid0(VALU_DEP_2)
	v_or_b32_e32 v22, v26, v22
	s_wait_alu 0xfffe
	s_and_not1_b32 exec_lo, exec_lo, s12
	s_cbranch_execnz .LBB26_46
; %bb.47:                               ;   in Loop: Header=BB26_3 Depth=1
	s_or_b32 exec_lo, exec_lo, s12
.LBB26_48:                              ;   in Loop: Header=BB26_3 Depth=1
	s_wait_alu 0xfffe
	s_or_b32 exec_lo, exec_lo, s11
	v_dual_mov_b32 v27, v25 :: v_dual_mov_b32 v26, v24
                                        ; implicit-def: $vgpr0
.LBB26_49:                              ;   in Loop: Header=BB26_3 Depth=1
	s_wait_alu 0xfffe
	s_or_saveexec_b32 s0, s10
	v_mov_b32_e32 v6, 0
	s_wait_alu 0xfffe
	s_xor_b32 exec_lo, exec_lo, s0
	s_cbranch_execz .LBB26_51
; %bb.50:                               ;   in Loop: Header=BB26_3 Depth=1
	global_load_b64 v[22:23], v[24:25], off
	v_add_nc_u32_e32 v6, -8, v0
.LBB26_51:                              ;   in Loop: Header=BB26_3 Depth=1
	s_or_b32 exec_lo, exec_lo, s0
	s_delay_alu instid0(SALU_CYCLE_1) | instskip(NEXT) | instid1(VALU_DEP_1)
	s_mov_b32 s0, exec_lo
	v_cmpx_gt_u32_e32 8, v6
	s_wait_alu 0xfffe
	s_xor_b32 s1, exec_lo, s0
	s_cbranch_execz .LBB26_57
; %bb.52:                               ;   in Loop: Header=BB26_3 Depth=1
	v_mov_b32_e32 v24, 0
	v_mov_b32_e32 v25, 0
	s_mov_b32 s10, exec_lo
	v_cmpx_ne_u32_e32 0, v6
	s_cbranch_execz .LBB26_56
; %bb.53:                               ;   in Loop: Header=BB26_3 Depth=1
	v_mov_b32_e32 v24, 0
	v_mov_b32_e32 v25, 0
	s_mov_b64 s[4:5], 0
	s_mov_b32 s11, 0
.LBB26_54:                              ;   Parent Loop BB26_3 Depth=1
                                        ; =>  This Inner Loop Header: Depth=2
	global_load_u8 v0, v[26:27], off
	v_dual_mov_b32 v29, s6 :: v_dual_add_nc_u32 v6, -1, v6
	v_add_co_u32 v26, vcc_lo, v26, 1
	s_wait_alu 0xfffd
	v_add_co_ci_u32_e64 v27, null, 0, v27, vcc_lo
	s_delay_alu instid0(VALU_DEP_3) | instskip(SKIP_4) | instid1(VALU_DEP_1)
	v_cmp_eq_u32_e64 s0, 0, v6
	s_wait_alu 0xfffe
	s_or_b32 s11, s0, s11
	s_wait_loadcnt 0x0
	v_and_b32_e32 v28, 0xffff, v0
	v_lshlrev_b64_e32 v[28:29], s4, v[28:29]
	s_add_nc_u64 s[4:5], s[4:5], 8
	s_delay_alu instid0(VALU_DEP_1) | instskip(NEXT) | instid1(VALU_DEP_2)
	v_or_b32_e32 v25, v29, v25
	v_or_b32_e32 v24, v28, v24
	s_wait_alu 0xfffe
	s_and_not1_b32 exec_lo, exec_lo, s11
	s_cbranch_execnz .LBB26_54
; %bb.55:                               ;   in Loop: Header=BB26_3 Depth=1
	s_or_b32 exec_lo, exec_lo, s11
.LBB26_56:                              ;   in Loop: Header=BB26_3 Depth=1
	s_wait_alu 0xfffe
	s_or_b32 exec_lo, exec_lo, s10
                                        ; implicit-def: $vgpr26_vgpr27
.LBB26_57:                              ;   in Loop: Header=BB26_3 Depth=1
	s_wait_alu 0xfffe
	s_and_not1_saveexec_b32 s0, s1
	s_cbranch_execz .LBB26_59
; %bb.58:                               ;   in Loop: Header=BB26_3 Depth=1
	global_load_b64 v[24:25], v[26:27], off
.LBB26_59:                              ;   in Loop: Header=BB26_3 Depth=1
	s_wait_alu 0xfffe
	s_or_b32 exec_lo, exec_lo, s0
	v_readfirstlane_b32 s0, v37
	v_mov_b32_e32 v32, 0
	v_mov_b32_e32 v33, 0
	s_wait_alu 0xf1ff
	s_delay_alu instid0(VALU_DEP_3)
	v_cmp_eq_u32_e64 s0, s0, v37
	s_and_saveexec_b32 s1, s0
	s_cbranch_execz .LBB26_65
; %bb.60:                               ;   in Loop: Header=BB26_3 Depth=1
	s_wait_kmcnt 0x0
	global_load_b64 v[28:29], v7, s[2:3] offset:24 scope:SCOPE_SYS
	s_wait_loadcnt 0x0
	global_inv scope:SCOPE_SYS
	s_clause 0x1
	global_load_b64 v[26:27], v7, s[2:3] offset:40
	global_load_b64 v[32:33], v7, s[2:3]
	s_mov_b32 s4, exec_lo
	s_wait_loadcnt 0x1
	v_and_b32_e32 v0, v27, v29
	v_and_b32_e32 v6, v26, v28
	s_delay_alu instid0(VALU_DEP_2) | instskip(NEXT) | instid1(VALU_DEP_2)
	v_mul_lo_u32 v0, 24, v0
	v_mul_lo_u32 v26, 0, v6
	v_mul_hi_u32 v27, 24, v6
	v_mul_lo_u32 v6, 24, v6
	s_delay_alu instid0(VALU_DEP_3) | instskip(SKIP_1) | instid1(VALU_DEP_2)
	v_add_nc_u32_e32 v0, v0, v26
	s_wait_loadcnt 0x0
	v_add_co_u32 v26, vcc_lo, v32, v6
	s_delay_alu instid0(VALU_DEP_2) | instskip(SKIP_1) | instid1(VALU_DEP_1)
	v_add_nc_u32_e32 v0, v0, v27
	s_wait_alu 0xfffd
	v_add_co_ci_u32_e64 v27, null, v33, v0, vcc_lo
	global_load_b64 v[26:27], v[26:27], off scope:SCOPE_SYS
	s_wait_loadcnt 0x0
	global_atomic_cmpswap_b64 v[32:33], v7, v[26:29], s[2:3] offset:24 th:TH_ATOMIC_RETURN scope:SCOPE_SYS
	s_wait_loadcnt 0x0
	global_inv scope:SCOPE_SYS
	v_cmpx_ne_u64_e64 v[32:33], v[28:29]
	s_cbranch_execz .LBB26_64
; %bb.61:                               ;   in Loop: Header=BB26_3 Depth=1
	s_mov_b32 s5, 0
.LBB26_62:                              ;   Parent Loop BB26_3 Depth=1
                                        ; =>  This Inner Loop Header: Depth=2
	s_sleep 1
	s_clause 0x1
	global_load_b64 v[26:27], v7, s[2:3] offset:40
	global_load_b64 v[34:35], v7, s[2:3]
	v_dual_mov_b32 v28, v32 :: v_dual_mov_b32 v29, v33
	s_wait_loadcnt 0x1
	s_delay_alu instid0(VALU_DEP_1) | instskip(NEXT) | instid1(VALU_DEP_2)
	v_and_b32_e32 v0, v26, v28
	v_and_b32_e32 v6, v27, v29
	s_wait_loadcnt 0x0
	s_delay_alu instid0(VALU_DEP_2) | instskip(NEXT) | instid1(VALU_DEP_1)
	v_mad_co_u64_u32 v[32:33], null, v0, 24, v[34:35]
	v_mov_b32_e32 v0, v33
	s_delay_alu instid0(VALU_DEP_1) | instskip(NEXT) | instid1(VALU_DEP_1)
	v_mad_co_u64_u32 v[26:27], null, v6, 24, v[0:1]
	v_mov_b32_e32 v33, v26
	global_load_b64 v[26:27], v[32:33], off scope:SCOPE_SYS
	s_wait_loadcnt 0x0
	global_atomic_cmpswap_b64 v[32:33], v7, v[26:29], s[2:3] offset:24 th:TH_ATOMIC_RETURN scope:SCOPE_SYS
	s_wait_loadcnt 0x0
	global_inv scope:SCOPE_SYS
	v_cmp_eq_u64_e32 vcc_lo, v[32:33], v[28:29]
	s_wait_alu 0xfffe
	s_or_b32 s5, vcc_lo, s5
	s_wait_alu 0xfffe
	s_and_not1_b32 exec_lo, exec_lo, s5
	s_cbranch_execnz .LBB26_62
; %bb.63:                               ;   in Loop: Header=BB26_3 Depth=1
	s_or_b32 exec_lo, exec_lo, s5
.LBB26_64:                              ;   in Loop: Header=BB26_3 Depth=1
	s_wait_alu 0xfffe
	s_or_b32 exec_lo, exec_lo, s4
.LBB26_65:                              ;   in Loop: Header=BB26_3 Depth=1
	s_wait_alu 0xfffe
	s_or_b32 exec_lo, exec_lo, s1
	s_wait_kmcnt 0x0
	s_clause 0x1
	global_load_b64 v[34:35], v7, s[2:3] offset:40
	global_load_b128 v[26:29], v7, s[2:3]
	v_readfirstlane_b32 s5, v33
	v_readfirstlane_b32 s4, v32
	s_mov_b32 s1, exec_lo
	s_wait_loadcnt 0x1
	s_wait_alu 0xf1ff
	v_and_b32_e32 v35, s5, v35
	v_and_b32_e32 v34, s4, v34
	s_delay_alu instid0(VALU_DEP_2) | instskip(NEXT) | instid1(VALU_DEP_2)
	v_mul_lo_u32 v0, 24, v35
	v_mul_lo_u32 v6, 0, v34
	v_mul_hi_u32 v32, 24, v34
	v_mul_lo_u32 v33, 24, v34
	s_delay_alu instid0(VALU_DEP_3) | instskip(NEXT) | instid1(VALU_DEP_1)
	v_add_nc_u32_e32 v0, v0, v6
	v_add_nc_u32_e32 v0, v0, v32
	s_wait_loadcnt 0x0
	s_delay_alu instid0(VALU_DEP_3) | instskip(SKIP_1) | instid1(VALU_DEP_2)
	v_add_co_u32 v32, vcc_lo, v26, v33
	s_wait_alu 0xfffd
	v_add_co_ci_u32_e64 v33, null, v27, v0, vcc_lo
	s_and_saveexec_b32 s10, s0
	s_cbranch_execz .LBB26_67
; %bb.66:                               ;   in Loop: Header=BB26_3 Depth=1
	s_wait_alu 0xfffe
	v_mov_b32_e32 v6, s1
	global_store_b128 v[32:33], v[6:9], off offset:8
.LBB26_67:                              ;   in Loop: Header=BB26_3 Depth=1
	s_wait_alu 0xfffe
	s_or_b32 exec_lo, exec_lo, s10
	v_cmp_gt_u64_e32 vcc_lo, 57, v[4:5]
	v_lshlrev_b64_e32 v[34:35], 12, v[34:35]
	v_and_b32_e32 v6, 0xffffff1f, v10
	v_lshl_add_u32 v10, v30, 2, 28
	s_wait_alu 0xfffd
	v_cndmask_b32_e32 v0, 0, v38, vcc_lo
	s_delay_alu instid0(VALU_DEP_1) | instskip(SKIP_3) | instid1(VALU_DEP_3)
	v_or_b32_e32 v6, v6, v0
	v_add_co_u32 v0, vcc_lo, v28, v34
	s_wait_alu 0xfffd
	v_add_co_ci_u32_e64 v28, null, v29, v35, vcc_lo
	v_and_or_b32 v10, 0x1e0, v10, v6
	v_lshlrev_b32_e32 v29, 6, v37
	v_readfirstlane_b32 s10, v0
	s_delay_alu instid0(VALU_DEP_4)
	v_readfirstlane_b32 s11, v28
	s_clause 0x3
	global_store_b128 v29, v[10:13], s[10:11]
	global_store_b128 v29, v[14:17], s[10:11] offset:16
	global_store_b128 v29, v[18:21], s[10:11] offset:32
	;; [unrolled: 1-line block ×3, first 2 shown]
	s_and_saveexec_b32 s1, s0
	s_cbranch_execz .LBB26_75
; %bb.68:                               ;   in Loop: Header=BB26_3 Depth=1
	s_clause 0x1
	global_load_b64 v[18:19], v7, s[2:3] offset:32 scope:SCOPE_SYS
	global_load_b64 v[10:11], v7, s[2:3] offset:40
	v_mov_b32_e32 v16, s4
	s_mov_b32 s10, exec_lo
	s_wait_loadcnt 0x0
	v_dual_mov_b32 v17, s5 :: v_dual_and_b32 v6, s5, v11
	v_and_b32_e32 v10, s4, v10
	s_delay_alu instid0(VALU_DEP_2) | instskip(NEXT) | instid1(VALU_DEP_2)
	v_mul_lo_u32 v6, 24, v6
	v_mul_lo_u32 v11, 0, v10
	v_mul_hi_u32 v12, 24, v10
	v_mul_lo_u32 v10, 24, v10
	s_delay_alu instid0(VALU_DEP_3) | instskip(NEXT) | instid1(VALU_DEP_2)
	v_add_nc_u32_e32 v6, v6, v11
	v_add_co_u32 v14, vcc_lo, v26, v10
	s_delay_alu instid0(VALU_DEP_2) | instskip(SKIP_1) | instid1(VALU_DEP_1)
	v_add_nc_u32_e32 v6, v6, v12
	s_wait_alu 0xfffd
	v_add_co_ci_u32_e64 v15, null, v27, v6, vcc_lo
	global_store_b64 v[14:15], v[18:19], off
	global_wb scope:SCOPE_SYS
	s_wait_storecnt 0x0
	global_atomic_cmpswap_b64 v[12:13], v7, v[16:19], s[2:3] offset:32 th:TH_ATOMIC_RETURN scope:SCOPE_SYS
	s_wait_loadcnt 0x0
	v_cmpx_ne_u64_e64 v[12:13], v[18:19]
	s_cbranch_execz .LBB26_71
; %bb.69:                               ;   in Loop: Header=BB26_3 Depth=1
	s_mov_b32 s11, 0
.LBB26_70:                              ;   Parent Loop BB26_3 Depth=1
                                        ; =>  This Inner Loop Header: Depth=2
	v_dual_mov_b32 v10, s4 :: v_dual_mov_b32 v11, s5
	s_sleep 1
	global_store_b64 v[14:15], v[12:13], off
	global_wb scope:SCOPE_SYS
	s_wait_storecnt 0x0
	global_atomic_cmpswap_b64 v[10:11], v7, v[10:13], s[2:3] offset:32 th:TH_ATOMIC_RETURN scope:SCOPE_SYS
	s_wait_loadcnt 0x0
	v_cmp_eq_u64_e32 vcc_lo, v[10:11], v[12:13]
	v_dual_mov_b32 v13, v11 :: v_dual_mov_b32 v12, v10
	s_wait_alu 0xfffe
	s_or_b32 s11, vcc_lo, s11
	s_wait_alu 0xfffe
	s_and_not1_b32 exec_lo, exec_lo, s11
	s_cbranch_execnz .LBB26_70
.LBB26_71:                              ;   in Loop: Header=BB26_3 Depth=1
	s_wait_alu 0xfffe
	s_or_b32 exec_lo, exec_lo, s10
	global_load_b64 v[10:11], v7, s[2:3] offset:16
	s_mov_b32 s11, exec_lo
	s_mov_b32 s10, exec_lo
	s_wait_alu 0xfffe
	v_mbcnt_lo_u32_b32 v6, s11, 0
	s_delay_alu instid0(VALU_DEP_1)
	v_cmpx_eq_u32_e32 0, v6
	s_cbranch_execz .LBB26_73
; %bb.72:                               ;   in Loop: Header=BB26_3 Depth=1
	s_bcnt1_i32_b32 s11, s11
	s_wait_alu 0xfffe
	v_mov_b32_e32 v6, s11
	global_wb scope:SCOPE_SYS
	s_wait_loadcnt 0x0
	s_wait_storecnt 0x0
	global_atomic_add_u64 v[10:11], v[6:7], off offset:8 scope:SCOPE_SYS
.LBB26_73:                              ;   in Loop: Header=BB26_3 Depth=1
	s_or_b32 exec_lo, exec_lo, s10
	s_wait_loadcnt 0x0
	global_load_b64 v[12:13], v[10:11], off offset:16
	s_wait_loadcnt 0x0
	v_cmp_eq_u64_e32 vcc_lo, 0, v[12:13]
	s_cbranch_vccnz .LBB26_75
; %bb.74:                               ;   in Loop: Header=BB26_3 Depth=1
	global_load_b32 v6, v[10:11], off offset:24
	s_wait_loadcnt 0x0
	v_readfirstlane_b32 s10, v6
	global_wb scope:SCOPE_SYS
	s_wait_storecnt 0x0
	global_store_b64 v[12:13], v[6:7], off scope:SCOPE_SYS
	s_and_b32 m0, s10, 0xffffff
	s_sendmsg sendmsg(MSG_INTERRUPT)
.LBB26_75:                              ;   in Loop: Header=BB26_3 Depth=1
	s_wait_alu 0xfffe
	s_or_b32 exec_lo, exec_lo, s1
	v_add_co_u32 v10, vcc_lo, v0, v29
	s_wait_alu 0xfffd
	v_add_co_ci_u32_e64 v11, null, 0, v28, vcc_lo
	s_branch .LBB26_79
.LBB26_76:                              ;   in Loop: Header=BB26_79 Depth=2
	s_wait_alu 0xfffe
	s_or_b32 exec_lo, exec_lo, s1
	s_delay_alu instid0(VALU_DEP_1)
	v_readfirstlane_b32 s1, v0
	s_cmp_eq_u32 s1, 0
	s_cbranch_scc1 .LBB26_78
; %bb.77:                               ;   in Loop: Header=BB26_79 Depth=2
	s_sleep 1
	s_cbranch_execnz .LBB26_79
	s_branch .LBB26_81
.LBB26_78:                              ;   in Loop: Header=BB26_3 Depth=1
	s_branch .LBB26_81
.LBB26_79:                              ;   Parent Loop BB26_3 Depth=1
                                        ; =>  This Inner Loop Header: Depth=2
	v_mov_b32_e32 v0, 1
	s_and_saveexec_b32 s1, s0
	s_cbranch_execz .LBB26_76
; %bb.80:                               ;   in Loop: Header=BB26_79 Depth=2
	global_load_b32 v0, v[32:33], off offset:20 scope:SCOPE_SYS
	s_wait_loadcnt 0x0
	global_inv scope:SCOPE_SYS
	v_and_b32_e32 v0, 1, v0
	s_branch .LBB26_76
.LBB26_81:                              ;   in Loop: Header=BB26_3 Depth=1
	global_load_b128 v[10:13], v[10:11], off
	s_and_saveexec_b32 s10, s0
	s_cbranch_execz .LBB26_2
; %bb.82:                               ;   in Loop: Header=BB26_3 Depth=1
	s_wait_loadcnt 0x0
	s_clause 0x2
	global_load_b64 v[12:13], v7, s[2:3] offset:40
	global_load_b64 v[20:21], v7, s[2:3] offset:24 scope:SCOPE_SYS
	global_load_b64 v[14:15], v7, s[2:3]
	s_wait_loadcnt 0x2
	v_readfirstlane_b32 s12, v12
	v_readfirstlane_b32 s13, v13
	s_add_nc_u64 s[0:1], s[12:13], 1
	s_wait_alu 0xfffe
	s_add_nc_u64 s[4:5], s[0:1], s[4:5]
	s_wait_alu 0xfffe
	s_cmp_eq_u64 s[4:5], 0
	s_cselect_b32 s1, s1, s5
	s_cselect_b32 s0, s0, s4
	s_wait_alu 0xfffe
	v_dual_mov_b32 v19, s1 :: v_dual_mov_b32 v18, s0
	s_and_b64 s[4:5], s[0:1], s[12:13]
	s_wait_alu 0xfffe
	s_mul_u64 s[4:5], s[4:5], 24
	s_wait_loadcnt 0x0
	s_wait_alu 0xfffe
	v_add_co_u32 v16, vcc_lo, v14, s4
	s_wait_alu 0xfffd
	v_add_co_ci_u32_e64 v17, null, s5, v15, vcc_lo
	global_store_b64 v[16:17], v[20:21], off
	global_wb scope:SCOPE_SYS
	s_wait_storecnt 0x0
	global_atomic_cmpswap_b64 v[14:15], v7, v[18:21], s[2:3] offset:24 th:TH_ATOMIC_RETURN scope:SCOPE_SYS
	s_wait_loadcnt 0x0
	v_cmp_ne_u64_e32 vcc_lo, v[14:15], v[20:21]
	s_and_b32 exec_lo, exec_lo, vcc_lo
	s_cbranch_execz .LBB26_2
; %bb.83:                               ;   in Loop: Header=BB26_3 Depth=1
	s_mov_b32 s4, 0
.LBB26_84:                              ;   Parent Loop BB26_3 Depth=1
                                        ; =>  This Inner Loop Header: Depth=2
	v_dual_mov_b32 v12, s0 :: v_dual_mov_b32 v13, s1
	s_sleep 1
	global_store_b64 v[16:17], v[14:15], off
	global_wb scope:SCOPE_SYS
	s_wait_storecnt 0x0
	global_atomic_cmpswap_b64 v[12:13], v7, v[12:15], s[2:3] offset:24 th:TH_ATOMIC_RETURN scope:SCOPE_SYS
	s_wait_loadcnt 0x0
	v_cmp_eq_u64_e32 vcc_lo, v[12:13], v[14:15]
	v_dual_mov_b32 v15, v13 :: v_dual_mov_b32 v14, v12
	s_wait_alu 0xfffe
	s_or_b32 s4, vcc_lo, s4
	s_wait_alu 0xfffe
	s_and_not1_b32 exec_lo, exec_lo, s4
	s_cbranch_execnz .LBB26_84
	s_branch .LBB26_2
.LBB26_85:
	s_or_b32 exec_lo, exec_lo, s7
	s_branch .LBB26_114
.LBB26_86:
	s_load_b64 s[2:3], s[8:9], 0x50
	v_readfirstlane_b32 s0, v37
	v_mov_b32_e32 v8, 0
	v_mov_b32_e32 v9, 0
	s_wait_alu 0xf1ff
	s_delay_alu instid0(VALU_DEP_3)
	v_cmp_eq_u32_e64 s0, s0, v37
	s_and_saveexec_b32 s1, s0
	s_cbranch_execz .LBB26_92
; %bb.87:
	v_mov_b32_e32 v0, 0
	s_mov_b32 s4, exec_lo
	s_wait_kmcnt 0x0
	global_load_b64 v[4:5], v0, s[2:3] offset:24 scope:SCOPE_SYS
	s_wait_loadcnt 0x0
	global_inv scope:SCOPE_SYS
	s_clause 0x1
	global_load_b64 v[2:3], v0, s[2:3] offset:40
	global_load_b64 v[6:7], v0, s[2:3]
	s_wait_loadcnt 0x1
	v_and_b32_e32 v3, v3, v5
	v_and_b32_e32 v2, v2, v4
	s_delay_alu instid0(VALU_DEP_2) | instskip(NEXT) | instid1(VALU_DEP_2)
	v_mul_lo_u32 v3, 24, v3
	v_mul_lo_u32 v8, 0, v2
	v_mul_hi_u32 v9, 24, v2
	v_mul_lo_u32 v2, 24, v2
	s_delay_alu instid0(VALU_DEP_3) | instskip(SKIP_1) | instid1(VALU_DEP_2)
	v_add_nc_u32_e32 v3, v3, v8
	s_wait_loadcnt 0x0
	v_add_co_u32 v2, vcc_lo, v6, v2
	s_delay_alu instid0(VALU_DEP_2) | instskip(SKIP_1) | instid1(VALU_DEP_1)
	v_add_nc_u32_e32 v3, v3, v9
	s_wait_alu 0xfffd
	v_add_co_ci_u32_e64 v3, null, v7, v3, vcc_lo
	global_load_b64 v[2:3], v[2:3], off scope:SCOPE_SYS
	s_wait_loadcnt 0x0
	global_atomic_cmpswap_b64 v[8:9], v0, v[2:5], s[2:3] offset:24 th:TH_ATOMIC_RETURN scope:SCOPE_SYS
	s_wait_loadcnt 0x0
	global_inv scope:SCOPE_SYS
	v_cmpx_ne_u64_e64 v[8:9], v[4:5]
	s_cbranch_execz .LBB26_91
; %bb.88:
	s_mov_b32 s5, 0
.LBB26_89:                              ; =>This Inner Loop Header: Depth=1
	s_sleep 1
	s_clause 0x1
	global_load_b64 v[2:3], v0, s[2:3] offset:40
	global_load_b64 v[6:7], v0, s[2:3]
	v_dual_mov_b32 v4, v8 :: v_dual_mov_b32 v5, v9
	s_wait_loadcnt 0x1
	s_delay_alu instid0(VALU_DEP_1) | instskip(NEXT) | instid1(VALU_DEP_2)
	v_and_b32_e32 v2, v2, v4
	v_and_b32_e32 v3, v3, v5
	s_wait_loadcnt 0x0
	s_delay_alu instid0(VALU_DEP_2) | instskip(NEXT) | instid1(VALU_DEP_1)
	v_mad_co_u64_u32 v[6:7], null, v2, 24, v[6:7]
	v_mov_b32_e32 v2, v7
	s_delay_alu instid0(VALU_DEP_1) | instskip(NEXT) | instid1(VALU_DEP_1)
	v_mad_co_u64_u32 v[2:3], null, v3, 24, v[2:3]
	v_mov_b32_e32 v7, v2
	global_load_b64 v[2:3], v[6:7], off scope:SCOPE_SYS
	s_wait_loadcnt 0x0
	global_atomic_cmpswap_b64 v[8:9], v0, v[2:5], s[2:3] offset:24 th:TH_ATOMIC_RETURN scope:SCOPE_SYS
	s_wait_loadcnt 0x0
	global_inv scope:SCOPE_SYS
	v_cmp_eq_u64_e32 vcc_lo, v[8:9], v[4:5]
	s_wait_alu 0xfffe
	s_or_b32 s5, vcc_lo, s5
	s_wait_alu 0xfffe
	s_and_not1_b32 exec_lo, exec_lo, s5
	s_cbranch_execnz .LBB26_89
; %bb.90:
	s_or_b32 exec_lo, exec_lo, s5
.LBB26_91:
	s_wait_alu 0xfffe
	s_or_b32 exec_lo, exec_lo, s4
.LBB26_92:
	s_wait_alu 0xfffe
	s_or_b32 exec_lo, exec_lo, s1
	v_readfirstlane_b32 s5, v9
	v_mov_b32_e32 v2, 0
	v_readfirstlane_b32 s4, v8
	s_mov_b32 s1, exec_lo
	s_wait_loadcnt 0x0
	s_wait_kmcnt 0x0
	s_clause 0x1
	global_load_b64 v[10:11], v2, s[2:3] offset:40
	global_load_b128 v[4:7], v2, s[2:3]
	s_wait_loadcnt 0x1
	s_wait_alu 0xf1ff
	v_and_b32_e32 v11, s5, v11
	v_and_b32_e32 v10, s4, v10
	s_delay_alu instid0(VALU_DEP_2) | instskip(NEXT) | instid1(VALU_DEP_2)
	v_mul_lo_u32 v0, 24, v11
	v_mul_lo_u32 v3, 0, v10
	v_mul_hi_u32 v8, 24, v10
	v_mul_lo_u32 v9, 24, v10
	s_delay_alu instid0(VALU_DEP_3) | instskip(NEXT) | instid1(VALU_DEP_1)
	v_add_nc_u32_e32 v0, v0, v3
	v_add_nc_u32_e32 v0, v0, v8
	s_wait_loadcnt 0x0
	s_delay_alu instid0(VALU_DEP_3) | instskip(SKIP_1) | instid1(VALU_DEP_2)
	v_add_co_u32 v8, vcc_lo, v4, v9
	s_wait_alu 0xfffd
	v_add_co_ci_u32_e64 v9, null, v5, v0, vcc_lo
	s_and_saveexec_b32 s6, s0
	s_cbranch_execz .LBB26_94
; %bb.93:
	s_wait_alu 0xfffe
	v_dual_mov_b32 v12, s1 :: v_dual_mov_b32 v13, v2
	v_dual_mov_b32 v14, 2 :: v_dual_mov_b32 v15, 1
	global_store_b128 v[8:9], v[12:15], off offset:8
.LBB26_94:
	s_wait_alu 0xfffe
	s_or_b32 exec_lo, exec_lo, s6
	v_lshlrev_b64_e32 v[10:11], 12, v[10:11]
	s_mov_b32 s8, 0
	v_and_or_b32 v0, 0xffffff1f, v36, 32
	s_wait_alu 0xfffe
	s_mov_b32 s11, s8
	s_mov_b32 s9, s8
	;; [unrolled: 1-line block ×3, first 2 shown]
	v_add_co_u32 v6, vcc_lo, v6, v10
	s_wait_alu 0xfffd
	v_add_co_ci_u32_e64 v7, null, v7, v11, vcc_lo
	v_dual_mov_b32 v3, v2 :: v_dual_lshlrev_b32 v14, 6, v37
	s_delay_alu instid0(VALU_DEP_3) | instskip(NEXT) | instid1(VALU_DEP_3)
	v_readfirstlane_b32 s6, v6
	v_readfirstlane_b32 s7, v7
	s_wait_alu 0xfffe
	v_dual_mov_b32 v13, s11 :: v_dual_mov_b32 v12, s10
	v_dual_mov_b32 v11, s9 :: v_dual_mov_b32 v10, s8
	s_clause 0x3
	global_store_b128 v14, v[0:3], s[6:7]
	global_store_b128 v14, v[10:13], s[6:7] offset:16
	global_store_b128 v14, v[10:13], s[6:7] offset:32
	;; [unrolled: 1-line block ×3, first 2 shown]
	s_and_saveexec_b32 s1, s0
	s_cbranch_execz .LBB26_102
; %bb.95:
	v_mov_b32_e32 v6, 0
	s_mov_b32 s6, exec_lo
	s_clause 0x1
	global_load_b64 v[12:13], v6, s[2:3] offset:32 scope:SCOPE_SYS
	global_load_b64 v[0:1], v6, s[2:3] offset:40
	v_dual_mov_b32 v11, s5 :: v_dual_mov_b32 v10, s4
	s_wait_loadcnt 0x0
	v_and_b32_e32 v1, s5, v1
	v_and_b32_e32 v0, s4, v0
	s_delay_alu instid0(VALU_DEP_2) | instskip(NEXT) | instid1(VALU_DEP_2)
	v_mul_lo_u32 v1, 24, v1
	v_mul_lo_u32 v2, 0, v0
	v_mul_hi_u32 v3, 24, v0
	v_mul_lo_u32 v0, 24, v0
	s_delay_alu instid0(VALU_DEP_3) | instskip(NEXT) | instid1(VALU_DEP_2)
	v_add_nc_u32_e32 v1, v1, v2
	v_add_co_u32 v4, vcc_lo, v4, v0
	s_delay_alu instid0(VALU_DEP_2) | instskip(SKIP_1) | instid1(VALU_DEP_1)
	v_add_nc_u32_e32 v1, v1, v3
	s_wait_alu 0xfffd
	v_add_co_ci_u32_e64 v5, null, v5, v1, vcc_lo
	global_store_b64 v[4:5], v[12:13], off
	global_wb scope:SCOPE_SYS
	s_wait_storecnt 0x0
	global_atomic_cmpswap_b64 v[2:3], v6, v[10:13], s[2:3] offset:32 th:TH_ATOMIC_RETURN scope:SCOPE_SYS
	s_wait_loadcnt 0x0
	v_cmpx_ne_u64_e64 v[2:3], v[12:13]
	s_cbranch_execz .LBB26_98
; %bb.96:
	s_mov_b32 s7, 0
.LBB26_97:                              ; =>This Inner Loop Header: Depth=1
	v_dual_mov_b32 v0, s4 :: v_dual_mov_b32 v1, s5
	s_sleep 1
	global_store_b64 v[4:5], v[2:3], off
	global_wb scope:SCOPE_SYS
	s_wait_storecnt 0x0
	global_atomic_cmpswap_b64 v[0:1], v6, v[0:3], s[2:3] offset:32 th:TH_ATOMIC_RETURN scope:SCOPE_SYS
	s_wait_loadcnt 0x0
	v_cmp_eq_u64_e32 vcc_lo, v[0:1], v[2:3]
	v_dual_mov_b32 v3, v1 :: v_dual_mov_b32 v2, v0
	s_wait_alu 0xfffe
	s_or_b32 s7, vcc_lo, s7
	s_wait_alu 0xfffe
	s_and_not1_b32 exec_lo, exec_lo, s7
	s_cbranch_execnz .LBB26_97
.LBB26_98:
	s_wait_alu 0xfffe
	s_or_b32 exec_lo, exec_lo, s6
	v_mov_b32_e32 v3, 0
	s_mov_b32 s7, exec_lo
	s_mov_b32 s6, exec_lo
	s_wait_alu 0xfffe
	v_mbcnt_lo_u32_b32 v2, s7, 0
	global_load_b64 v[0:1], v3, s[2:3] offset:16
	v_cmpx_eq_u32_e32 0, v2
	s_cbranch_execz .LBB26_100
; %bb.99:
	s_bcnt1_i32_b32 s7, s7
	s_wait_alu 0xfffe
	v_mov_b32_e32 v2, s7
	global_wb scope:SCOPE_SYS
	s_wait_loadcnt 0x0
	s_wait_storecnt 0x0
	global_atomic_add_u64 v[0:1], v[2:3], off offset:8 scope:SCOPE_SYS
.LBB26_100:
	s_or_b32 exec_lo, exec_lo, s6
	s_wait_loadcnt 0x0
	global_load_b64 v[2:3], v[0:1], off offset:16
	s_wait_loadcnt 0x0
	v_cmp_eq_u64_e32 vcc_lo, 0, v[2:3]
	s_cbranch_vccnz .LBB26_102
; %bb.101:
	global_load_b32 v0, v[0:1], off offset:24
	v_mov_b32_e32 v1, 0
	s_wait_loadcnt 0x0
	v_readfirstlane_b32 s6, v0
	global_wb scope:SCOPE_SYS
	s_wait_storecnt 0x0
	global_store_b64 v[2:3], v[0:1], off scope:SCOPE_SYS
	s_and_b32 m0, s6, 0xffffff
	s_sendmsg sendmsg(MSG_INTERRUPT)
.LBB26_102:
	s_wait_alu 0xfffe
	s_or_b32 exec_lo, exec_lo, s1
	s_branch .LBB26_106
.LBB26_103:                             ;   in Loop: Header=BB26_106 Depth=1
	s_wait_alu 0xfffe
	s_or_b32 exec_lo, exec_lo, s1
	s_delay_alu instid0(VALU_DEP_1)
	v_readfirstlane_b32 s1, v0
	s_cmp_eq_u32 s1, 0
	s_cbranch_scc1 .LBB26_105
; %bb.104:                              ;   in Loop: Header=BB26_106 Depth=1
	s_sleep 1
	s_cbranch_execnz .LBB26_106
	s_branch .LBB26_108
.LBB26_105:
	s_branch .LBB26_108
.LBB26_106:                             ; =>This Inner Loop Header: Depth=1
	v_mov_b32_e32 v0, 1
	s_and_saveexec_b32 s1, s0
	s_cbranch_execz .LBB26_103
; %bb.107:                              ;   in Loop: Header=BB26_106 Depth=1
	global_load_b32 v0, v[8:9], off offset:20 scope:SCOPE_SYS
	s_wait_loadcnt 0x0
	global_inv scope:SCOPE_SYS
	v_and_b32_e32 v0, 1, v0
	s_branch .LBB26_103
.LBB26_108:
	s_and_saveexec_b32 s6, s0
	s_cbranch_execz .LBB26_112
; %bb.109:
	v_mov_b32_e32 v6, 0
	s_clause 0x2
	global_load_b64 v[0:1], v6, s[2:3] offset:40
	global_load_b64 v[9:10], v6, s[2:3] offset:24 scope:SCOPE_SYS
	global_load_b64 v[2:3], v6, s[2:3]
	s_wait_loadcnt 0x2
	v_readfirstlane_b32 s8, v0
	v_readfirstlane_b32 s9, v1
	s_add_nc_u64 s[0:1], s[8:9], 1
	s_wait_alu 0xfffe
	s_add_nc_u64 s[4:5], s[0:1], s[4:5]
	s_wait_alu 0xfffe
	s_cmp_eq_u64 s[4:5], 0
	s_cselect_b32 s1, s1, s5
	s_cselect_b32 s0, s0, s4
	s_wait_alu 0xfffe
	v_mov_b32_e32 v8, s1
	s_and_b64 s[4:5], s[0:1], s[8:9]
	v_mov_b32_e32 v7, s0
	s_wait_alu 0xfffe
	s_mul_u64 s[4:5], s[4:5], 24
	s_wait_loadcnt 0x0
	s_wait_alu 0xfffe
	v_add_co_u32 v4, vcc_lo, v2, s4
	s_wait_alu 0xfffd
	v_add_co_ci_u32_e64 v5, null, s5, v3, vcc_lo
	global_store_b64 v[4:5], v[9:10], off
	global_wb scope:SCOPE_SYS
	s_wait_storecnt 0x0
	global_atomic_cmpswap_b64 v[2:3], v6, v[7:10], s[2:3] offset:24 th:TH_ATOMIC_RETURN scope:SCOPE_SYS
	s_wait_loadcnt 0x0
	v_cmp_ne_u64_e32 vcc_lo, v[2:3], v[9:10]
	s_and_b32 exec_lo, exec_lo, vcc_lo
	s_cbranch_execz .LBB26_112
; %bb.110:
	s_mov_b32 s4, 0
.LBB26_111:                             ; =>This Inner Loop Header: Depth=1
	v_dual_mov_b32 v0, s0 :: v_dual_mov_b32 v1, s1
	s_sleep 1
	global_store_b64 v[4:5], v[2:3], off
	global_wb scope:SCOPE_SYS
	s_wait_storecnt 0x0
	global_atomic_cmpswap_b64 v[0:1], v6, v[0:3], s[2:3] offset:24 th:TH_ATOMIC_RETURN scope:SCOPE_SYS
	s_wait_loadcnt 0x0
	v_cmp_eq_u64_e32 vcc_lo, v[0:1], v[2:3]
	v_dual_mov_b32 v3, v1 :: v_dual_mov_b32 v2, v0
	s_wait_alu 0xfffe
	s_or_b32 s4, vcc_lo, s4
	s_wait_alu 0xfffe
	s_and_not1_b32 exec_lo, exec_lo, s4
	s_cbranch_execnz .LBB26_111
.LBB26_112:
	s_wait_alu 0xfffe
	s_or_b32 exec_lo, exec_lo, s6
	s_wait_loadcnt 0x0
	s_wait_kmcnt 0x0
	s_setpc_b64 s[30:31]
.LBB26_113:
	s_cbranch_execnz .LBB26_86
.LBB26_114:
	s_wait_loadcnt 0x0
	s_wait_kmcnt 0x0
	s_setpc_b64 s[30:31]
.Lfunc_end26:
	.size	__ockl_fprintf_append_string_n, .Lfunc_end26-__ockl_fprintf_append_string_n
                                        ; -- End function
	.set .L__ockl_fprintf_append_string_n.num_vgpr, 39
	.set .L__ockl_fprintf_append_string_n.num_agpr, 0
	.set .L__ockl_fprintf_append_string_n.numbered_sgpr, 32
	.set .L__ockl_fprintf_append_string_n.num_named_barrier, 0
	.set .L__ockl_fprintf_append_string_n.private_seg_size, 0
	.set .L__ockl_fprintf_append_string_n.uses_vcc, 1
	.set .L__ockl_fprintf_append_string_n.uses_flat_scratch, 0
	.set .L__ockl_fprintf_append_string_n.has_dyn_sized_stack, 0
	.set .L__ockl_fprintf_append_string_n.has_recursion, 0
	.set .L__ockl_fprintf_append_string_n.has_indirect_call, 0
	.section	.AMDGPU.csdata,"",@progbits
; Function info:
; codeLenInByte = 5312
; TotalNumSgprs: 34
; NumVgprs: 39
; ScratchSize: 0
; MemoryBound: 0
	.text
	.p2align	2                               ; -- Begin function __assert_fail
	.type	__assert_fail,@function
__assert_fail:                          ; @__assert_fail
; %bb.0:
	s_wait_loadcnt_dscnt 0x0
	s_wait_expcnt 0x0
	s_wait_samplecnt 0x0
	s_wait_bvhcnt 0x0
	s_wait_kmcnt 0x0
	s_mov_b32 s20, s33
	s_mov_b32 s33, s32
	s_or_saveexec_b32 s0, -1
	scratch_store_b32 off, v40, s33 offset:48 ; 4-byte Folded Spill
	s_wait_alu 0xfffe
	s_mov_b32 exec_lo, s0
	v_writelane_b32 v40, s30, 0
	s_add_co_i32 s32, s32, 64
	v_writelane_b32 v40, s31, 1
	v_dual_mov_b32 v5, v1 :: v_dual_mov_b32 v4, v0
	v_mov_b32_e32 v0, 0
	s_getpc_b64 s[0:1]
	s_wait_alu 0xfffe
	s_sext_i32_i16 s1, s1
	s_add_co_u32 s0, s0, __const.__assert_fail.fmt@rel32@lo+43
	s_wait_alu 0xfffe
	s_add_co_ci_u32 s1, s1, __const.__assert_fail.fmt@rel32@hi+55
	v_mbcnt_lo_u32_b32 v37, -1, 0
	v_mov_b32_e32 v6, 0
	v_mov_b32_e32 v7, 0
	global_load_b128 v[8:11], v0, s[0:1]
	s_getpc_b64 s[0:1]
	s_wait_alu 0xfffe
	s_sext_i32_i16 s1, s1
	s_add_co_u32 s0, s0, __const.__assert_fail.fmt@rel32@lo+12
	s_wait_alu 0xfffe
	s_add_co_ci_u32 s1, s1, __const.__assert_fail.fmt@rel32@hi+24
	s_getpc_b64 s[2:3]
	s_wait_alu 0xfffe
	s_sext_i32_i16 s3, s3
	s_add_co_u32 s2, s2, __const.__assert_fail.fmt@rel32@lo+28
	s_wait_alu 0xfffe
	s_add_co_ci_u32 s3, s3, __const.__assert_fail.fmt@rel32@hi+40
	s_clause 0x1
	s_load_b128 s[4:7], s[0:1], 0x0
	s_load_b128 s[12:15], s[2:3], 0x0
	s_load_b64 s[2:3], s[8:9], 0x50
	v_readfirstlane_b32 s0, v37
	s_wait_alu 0xf1ff
	s_delay_alu instid0(VALU_DEP_1)
	v_cmp_eq_u32_e64 s0, s0, v37
	s_wait_kmcnt 0x0
	v_dual_mov_b32 v15, s7 :: v_dual_mov_b32 v12, s4
	v_dual_mov_b32 v19, s15 :: v_dual_mov_b32 v14, s6
	;; [unrolled: 1-line block ×4, first 2 shown]
	s_clause 0x1
	scratch_store_b128 off, v[12:15], s33
	scratch_store_b128 off, v[16:19], s33 offset:16
	s_wait_loadcnt 0x0
	scratch_store_b128 off, v[8:11], s33 offset:31
	s_and_saveexec_b32 s1, s0
	s_cbranch_execz .LBB27_6
; %bb.1:
	global_load_b64 v[8:9], v0, s[2:3] offset:24 scope:SCOPE_SYS
	s_wait_loadcnt 0x0
	global_inv scope:SCOPE_SYS
	s_clause 0x1
	global_load_b64 v[1:2], v0, s[2:3] offset:40
	global_load_b64 v[6:7], v0, s[2:3]
	s_mov_b32 s4, exec_lo
	s_wait_loadcnt 0x1
	v_and_b32_e32 v2, v2, v9
	v_and_b32_e32 v1, v1, v8
	s_delay_alu instid0(VALU_DEP_2) | instskip(NEXT) | instid1(VALU_DEP_2)
	v_mul_lo_u32 v2, 24, v2
	v_mul_lo_u32 v3, 0, v1
	v_mul_hi_u32 v10, 24, v1
	v_mul_lo_u32 v1, 24, v1
	s_delay_alu instid0(VALU_DEP_3) | instskip(SKIP_1) | instid1(VALU_DEP_2)
	v_add_nc_u32_e32 v2, v2, v3
	s_wait_loadcnt 0x0
	v_add_co_u32 v1, vcc_lo, v6, v1
	s_delay_alu instid0(VALU_DEP_2) | instskip(SKIP_1) | instid1(VALU_DEP_1)
	v_add_nc_u32_e32 v2, v2, v10
	s_wait_alu 0xfffd
	v_add_co_ci_u32_e64 v2, null, v7, v2, vcc_lo
	global_load_b64 v[6:7], v[1:2], off scope:SCOPE_SYS
	s_wait_loadcnt 0x0
	global_atomic_cmpswap_b64 v[6:7], v0, v[6:9], s[2:3] offset:24 th:TH_ATOMIC_RETURN scope:SCOPE_SYS
	s_wait_loadcnt 0x0
	global_inv scope:SCOPE_SYS
	v_cmpx_ne_u64_e64 v[6:7], v[8:9]
	s_cbranch_execz .LBB27_5
; %bb.2:
	v_mov_b32_e32 v1, 0
	s_mov_b32 s5, 0
.LBB27_3:                               ; =>This Inner Loop Header: Depth=1
	s_sleep 1
	s_clause 0x1
	global_load_b64 v[2:3], v1, s[2:3] offset:40
	global_load_b64 v[10:11], v1, s[2:3]
	v_dual_mov_b32 v9, v7 :: v_dual_mov_b32 v8, v6
	s_wait_loadcnt 0x1
	s_delay_alu instid0(VALU_DEP_1) | instskip(NEXT) | instid1(VALU_DEP_2)
	v_and_b32_e32 v2, v2, v8
	v_and_b32_e32 v3, v3, v9
	s_wait_loadcnt 0x0
	s_delay_alu instid0(VALU_DEP_2) | instskip(NEXT) | instid1(VALU_DEP_1)
	v_mad_co_u64_u32 v[6:7], null, v2, 24, v[10:11]
	v_mov_b32_e32 v2, v7
	s_delay_alu instid0(VALU_DEP_1) | instskip(NEXT) | instid1(VALU_DEP_1)
	v_mad_co_u64_u32 v[2:3], null, v3, 24, v[2:3]
	v_mov_b32_e32 v7, v2
	global_load_b64 v[6:7], v[6:7], off scope:SCOPE_SYS
	s_wait_loadcnt 0x0
	global_atomic_cmpswap_b64 v[6:7], v1, v[6:9], s[2:3] offset:24 th:TH_ATOMIC_RETURN scope:SCOPE_SYS
	s_wait_loadcnt 0x0
	global_inv scope:SCOPE_SYS
	v_cmp_eq_u64_e32 vcc_lo, v[6:7], v[8:9]
	s_wait_alu 0xfffe
	s_or_b32 s5, vcc_lo, s5
	s_wait_alu 0xfffe
	s_and_not1_b32 exec_lo, exec_lo, s5
	s_cbranch_execnz .LBB27_3
; %bb.4:
	s_or_b32 exec_lo, exec_lo, s5
.LBB27_5:
	s_wait_alu 0xfffe
	s_or_b32 exec_lo, exec_lo, s4
.LBB27_6:
	s_wait_alu 0xfffe
	s_or_b32 exec_lo, exec_lo, s1
	s_clause 0x1
	global_load_b64 v[8:9], v0, s[2:3] offset:40
	global_load_b128 v[0:3], v0, s[2:3]
	v_readfirstlane_b32 s5, v7
	v_readfirstlane_b32 s4, v6
	s_mov_b32 s1, exec_lo
	s_wait_loadcnt 0x1
	s_wait_alu 0xf1ff
	v_and_b32_e32 v7, s5, v9
	v_and_b32_e32 v6, s4, v8
	s_delay_alu instid0(VALU_DEP_2) | instskip(NEXT) | instid1(VALU_DEP_2)
	v_mul_lo_u32 v8, 24, v7
	v_mul_lo_u32 v9, 0, v6
	v_mul_hi_u32 v10, 24, v6
	v_mul_lo_u32 v11, 24, v6
	s_delay_alu instid0(VALU_DEP_3) | instskip(NEXT) | instid1(VALU_DEP_1)
	v_add_nc_u32_e32 v8, v8, v9
	v_add_nc_u32_e32 v8, v8, v10
	s_wait_loadcnt 0x0
	s_delay_alu instid0(VALU_DEP_3) | instskip(SKIP_1) | instid1(VALU_DEP_2)
	v_add_co_u32 v10, vcc_lo, v0, v11
	s_wait_alu 0xfffd
	v_add_co_ci_u32_e64 v11, null, v1, v8, vcc_lo
	s_and_saveexec_b32 s6, s0
	s_cbranch_execz .LBB27_8
; %bb.7:
	s_wait_alu 0xfffe
	v_dual_mov_b32 v12, s1 :: v_dual_mov_b32 v13, 0
	v_dual_mov_b32 v14, 2 :: v_dual_mov_b32 v15, 1
	global_store_b128 v[10:11], v[12:15], off offset:8
.LBB27_8:
	s_wait_alu 0xfffe
	s_or_b32 exec_lo, exec_lo, s6
	v_lshlrev_b64_e32 v[12:13], 12, v[6:7]
	v_dual_mov_b32 v7, 0 :: v_dual_lshlrev_b32 v36, 6, v37
	s_mov_b32 s12, 0
	v_mov_b32_e32 v6, 33
	s_wait_alu 0xfffe
	s_mov_b32 s15, s12
	v_add_co_u32 v2, vcc_lo, v2, v12
	s_wait_alu 0xfffd
	v_add_co_ci_u32_e64 v3, null, v3, v13, vcc_lo
	s_mov_b32 s13, s12
	v_add_co_u32 v12, vcc_lo, v2, v36
	s_mov_b32 s14, s12
	s_wait_alu 0xfffe
	v_dual_mov_b32 v8, 1 :: v_dual_mov_b32 v17, s15
	v_mov_b32_e32 v9, v7
	v_readfirstlane_b32 s6, v2
	v_readfirstlane_b32 s7, v3
	s_wait_alu 0xfffd
	v_add_co_ci_u32_e64 v13, null, 0, v3, vcc_lo
	v_dual_mov_b32 v16, s14 :: v_dual_mov_b32 v15, s13
	v_mov_b32_e32 v14, s12
	s_clause 0x3
	global_store_b128 v36, v[6:9], s[6:7]
	global_store_b128 v36, v[14:17], s[6:7] offset:16
	global_store_b128 v36, v[14:17], s[6:7] offset:32
	;; [unrolled: 1-line block ×3, first 2 shown]
	s_and_saveexec_b32 s1, s0
	s_cbranch_execz .LBB27_16
; %bb.9:
	s_clause 0x1
	global_load_b64 v[16:17], v7, s[2:3] offset:32 scope:SCOPE_SYS
	global_load_b64 v[2:3], v7, s[2:3] offset:40
	s_mov_b32 s6, exec_lo
	v_dual_mov_b32 v14, s4 :: v_dual_mov_b32 v15, s5
	s_wait_loadcnt 0x0
	v_and_b32_e32 v2, s4, v2
	v_and_b32_e32 v3, s5, v3
	s_delay_alu instid0(VALU_DEP_2) | instskip(NEXT) | instid1(VALU_DEP_2)
	v_mul_lo_u32 v6, 0, v2
	v_mul_lo_u32 v3, 24, v3
	v_mul_hi_u32 v8, 24, v2
	v_mul_lo_u32 v2, 24, v2
	s_delay_alu instid0(VALU_DEP_3) | instskip(NEXT) | instid1(VALU_DEP_1)
	v_add_nc_u32_e32 v3, v3, v6
	v_add_nc_u32_e32 v3, v3, v8
	s_delay_alu instid0(VALU_DEP_3) | instskip(SKIP_1) | instid1(VALU_DEP_2)
	v_add_co_u32 v8, vcc_lo, v0, v2
	s_wait_alu 0xfffd
	v_add_co_ci_u32_e64 v9, null, v1, v3, vcc_lo
	global_store_b64 v[8:9], v[16:17], off
	global_wb scope:SCOPE_SYS
	s_wait_storecnt 0x0
	global_atomic_cmpswap_b64 v[2:3], v7, v[14:17], s[2:3] offset:32 th:TH_ATOMIC_RETURN scope:SCOPE_SYS
	s_wait_loadcnt 0x0
	v_cmpx_ne_u64_e64 v[2:3], v[16:17]
	s_cbranch_execz .LBB27_12
; %bb.10:
	v_mov_b32_e32 v6, 0
	s_mov_b32 s7, 0
.LBB27_11:                              ; =>This Inner Loop Header: Depth=1
	v_dual_mov_b32 v0, s4 :: v_dual_mov_b32 v1, s5
	s_sleep 1
	global_store_b64 v[8:9], v[2:3], off
	global_wb scope:SCOPE_SYS
	s_wait_storecnt 0x0
	global_atomic_cmpswap_b64 v[0:1], v6, v[0:3], s[2:3] offset:32 th:TH_ATOMIC_RETURN scope:SCOPE_SYS
	s_wait_loadcnt 0x0
	v_cmp_eq_u64_e32 vcc_lo, v[0:1], v[2:3]
	v_dual_mov_b32 v3, v1 :: v_dual_mov_b32 v2, v0
	s_wait_alu 0xfffe
	s_or_b32 s7, vcc_lo, s7
	s_wait_alu 0xfffe
	s_and_not1_b32 exec_lo, exec_lo, s7
	s_cbranch_execnz .LBB27_11
.LBB27_12:
	s_wait_alu 0xfffe
	s_or_b32 exec_lo, exec_lo, s6
	v_mov_b32_e32 v3, 0
	s_mov_b32 s7, exec_lo
	s_mov_b32 s6, exec_lo
	s_wait_alu 0xfffe
	v_mbcnt_lo_u32_b32 v2, s7, 0
	global_load_b64 v[0:1], v3, s[2:3] offset:16
	v_cmpx_eq_u32_e32 0, v2
	s_cbranch_execz .LBB27_14
; %bb.13:
	s_bcnt1_i32_b32 s7, s7
	s_wait_alu 0xfffe
	v_mov_b32_e32 v2, s7
	global_wb scope:SCOPE_SYS
	s_wait_loadcnt 0x0
	s_wait_storecnt 0x0
	global_atomic_add_u64 v[0:1], v[2:3], off offset:8 scope:SCOPE_SYS
.LBB27_14:
	s_or_b32 exec_lo, exec_lo, s6
	s_wait_loadcnt 0x0
	global_load_b64 v[2:3], v[0:1], off offset:16
	s_wait_loadcnt 0x0
	v_cmp_eq_u64_e32 vcc_lo, 0, v[2:3]
	s_cbranch_vccnz .LBB27_16
; %bb.15:
	global_load_b32 v0, v[0:1], off offset:24
	v_mov_b32_e32 v1, 0
	s_wait_loadcnt 0x0
	v_readfirstlane_b32 s6, v0
	global_wb scope:SCOPE_SYS
	s_wait_storecnt 0x0
	global_store_b64 v[2:3], v[0:1], off scope:SCOPE_SYS
	s_and_b32 m0, s6, 0xffffff
	s_sendmsg sendmsg(MSG_INTERRUPT)
.LBB27_16:
	s_wait_alu 0xfffe
	s_or_b32 exec_lo, exec_lo, s1
	s_branch .LBB27_20
.LBB27_17:                              ;   in Loop: Header=BB27_20 Depth=1
	s_wait_alu 0xfffe
	s_or_b32 exec_lo, exec_lo, s1
	s_delay_alu instid0(VALU_DEP_1)
	v_readfirstlane_b32 s1, v0
	s_cmp_eq_u32 s1, 0
	s_cbranch_scc1 .LBB27_19
; %bb.18:                               ;   in Loop: Header=BB27_20 Depth=1
	s_sleep 1
	s_cbranch_execnz .LBB27_20
	s_branch .LBB27_22
.LBB27_19:
	s_branch .LBB27_22
.LBB27_20:                              ; =>This Inner Loop Header: Depth=1
	v_mov_b32_e32 v0, 1
	s_and_saveexec_b32 s1, s0
	s_cbranch_execz .LBB27_17
; %bb.21:                               ;   in Loop: Header=BB27_20 Depth=1
	global_load_b32 v0, v[10:11], off offset:20 scope:SCOPE_SYS
	s_wait_loadcnt 0x0
	global_inv scope:SCOPE_SYS
	v_and_b32_e32 v0, 1, v0
	s_branch .LBB27_17
.LBB27_22:
	global_load_b64 v[6:7], v[12:13], off
	s_and_saveexec_b32 s6, s0
	s_cbranch_execz .LBB27_26
; %bb.23:
	v_mov_b32_e32 v10, 0
	s_clause 0x2
	global_load_b64 v[0:1], v10, s[2:3] offset:40
	global_load_b64 v[13:14], v10, s[2:3] offset:24 scope:SCOPE_SYS
	global_load_b64 v[2:3], v10, s[2:3]
	s_wait_loadcnt 0x2
	v_readfirstlane_b32 s10, v0
	v_readfirstlane_b32 s11, v1
	s_add_nc_u64 s[0:1], s[10:11], 1
	s_wait_alu 0xfffe
	s_add_nc_u64 s[4:5], s[0:1], s[4:5]
	s_wait_alu 0xfffe
	s_cmp_eq_u64 s[4:5], 0
	s_cselect_b32 s1, s1, s5
	s_cselect_b32 s0, s0, s4
	s_wait_alu 0xfffe
	v_mov_b32_e32 v12, s1
	s_and_b64 s[4:5], s[0:1], s[10:11]
	v_mov_b32_e32 v11, s0
	s_wait_alu 0xfffe
	s_mul_u64 s[4:5], s[4:5], 24
	s_wait_loadcnt 0x0
	s_wait_alu 0xfffe
	v_add_co_u32 v8, vcc_lo, v2, s4
	s_wait_alu 0xfffd
	v_add_co_ci_u32_e64 v9, null, s5, v3, vcc_lo
	global_store_b64 v[8:9], v[13:14], off
	global_wb scope:SCOPE_SYS
	s_wait_storecnt 0x0
	global_atomic_cmpswap_b64 v[2:3], v10, v[11:14], s[2:3] offset:24 th:TH_ATOMIC_RETURN scope:SCOPE_SYS
	s_wait_loadcnt 0x0
	v_cmp_ne_u64_e32 vcc_lo, v[2:3], v[13:14]
	s_and_b32 exec_lo, exec_lo, vcc_lo
	s_cbranch_execz .LBB27_26
; %bb.24:
	s_mov_b32 s4, 0
.LBB27_25:                              ; =>This Inner Loop Header: Depth=1
	v_dual_mov_b32 v0, s0 :: v_dual_mov_b32 v1, s1
	s_sleep 1
	global_store_b64 v[8:9], v[2:3], off
	global_wb scope:SCOPE_SYS
	s_wait_storecnt 0x0
	global_atomic_cmpswap_b64 v[0:1], v10, v[0:3], s[2:3] offset:24 th:TH_ATOMIC_RETURN scope:SCOPE_SYS
	s_wait_loadcnt 0x0
	v_cmp_eq_u64_e32 vcc_lo, v[0:1], v[2:3]
	v_dual_mov_b32 v3, v1 :: v_dual_mov_b32 v2, v0
	s_wait_alu 0xfffe
	s_or_b32 s4, vcc_lo, s4
	s_wait_alu 0xfffe
	s_and_not1_b32 exec_lo, exec_lo, s4
	s_cbranch_execnz .LBB27_25
.LBB27_26:
	s_wait_alu 0xfffe
	s_or_b32 exec_lo, exec_lo, s6
	s_mov_b32 s1, s33
	s_mov_b32 s0, 0
.LBB27_27:                              ; =>This Inner Loop Header: Depth=1
	scratch_load_u8 v0, off, s1
	s_wait_alu 0xfffe
	s_add_co_i32 s1, s1, 1
	s_wait_loadcnt 0x0
	v_cmp_eq_u16_e32 vcc_lo, 0, v0
	s_wait_alu 0xfffe
	v_mov_b32_e32 v0, s1
	s_or_b32 s0, vcc_lo, s0
	s_wait_alu 0xfffe
	s_and_not1_b32 exec_lo, exec_lo, s0
	s_cbranch_execnz .LBB27_27
; %bb.28:
	s_or_b32 exec_lo, exec_lo, s0
	s_cmp_lg_u32 s33, -1
	s_cbranch_scc0 .LBB27_113
; %bb.29:
	v_subrev_nc_u32_e32 v28, s33, v0
	v_dual_mov_b32 v9, 0 :: v_dual_and_b32 v38, 2, v6
	v_dual_mov_b32 v1, v7 :: v_dual_and_b32 v0, -3, v6
	s_delay_alu instid0(VALU_DEP_3)
	v_ashrrev_i32_e32 v29, 31, v28
	v_dual_mov_b32 v39, s33 :: v_dual_mov_b32 v10, 2
	v_mov_b32_e32 v11, 1
	s_mov_b32 s7, 0
	s_mov_b32 s6, 0
	s_branch .LBB27_31
.LBB27_30:                              ;   in Loop: Header=BB27_31 Depth=1
	s_wait_alu 0xfffe
	s_or_b32 exec_lo, exec_lo, s10
	v_sub_co_u32 v28, vcc_lo, v28, v30
	s_wait_alu 0xfffd
	v_sub_co_ci_u32_e64 v29, null, v29, v31, vcc_lo
	v_add_nc_u32_e32 v39, v39, v30
	s_delay_alu instid0(VALU_DEP_2)
	v_cmp_eq_u64_e32 vcc_lo, 0, v[28:29]
	s_or_b32 s6, vcc_lo, s6
	s_wait_alu 0xfffe
	s_and_not1_b32 exec_lo, exec_lo, s6
	s_cbranch_execz .LBB27_114
.LBB27_31:                              ; =>This Loop Header: Depth=1
                                        ;     Child Loop BB27_34 Depth 2
                                        ;     Child Loop BB27_42 Depth 2
                                        ;     Child Loop BB27_50 Depth 2
                                        ;     Child Loop BB27_58 Depth 2
                                        ;     Child Loop BB27_66 Depth 2
                                        ;     Child Loop BB27_74 Depth 2
                                        ;     Child Loop BB27_82 Depth 2
                                        ;     Child Loop BB27_90 Depth 2
                                        ;     Child Loop BB27_98 Depth 2
                                        ;     Child Loop BB27_107 Depth 2
                                        ;     Child Loop BB27_112 Depth 2
	v_cmp_gt_u64_e32 vcc_lo, 56, v[28:29]
	v_add_nc_u32_e32 v14, 8, v39
	s_mov_b32 s1, exec_lo
	s_wait_alu 0xfffd
	v_dual_cndmask_b32 v31, 0, v29 :: v_dual_cndmask_b32 v30, 56, v28
	v_cmpx_gt_u64_e32 8, v[28:29]
	s_wait_alu 0xfffe
	s_xor_b32 s4, exec_lo, s1
	s_cbranch_execz .LBB27_37
; %bb.32:                               ;   in Loop: Header=BB27_31 Depth=1
	v_mov_b32_e32 v2, 0
	v_mov_b32_e32 v3, 0
	s_mov_b32 s5, exec_lo
	v_cmpx_ne_u64_e32 0, v[28:29]
	s_cbranch_execz .LBB27_36
; %bb.33:                               ;   in Loop: Header=BB27_31 Depth=1
	v_lshlrev_b64_e32 v[12:13], 3, v[30:31]
	v_mov_b32_e32 v2, 0
	v_dual_mov_b32 v3, 0 :: v_dual_mov_b32 v8, v39
	s_mov_b64 s[0:1], 0
	s_mov_b32 s10, 0
.LBB27_34:                              ;   Parent Loop BB27_31 Depth=1
                                        ; =>  This Inner Loop Header: Depth=2
	scratch_load_u8 v13, v8, off
	v_mov_b32_e32 v14, s7
	v_add_nc_u32_e32 v8, 1, v8
	s_wait_loadcnt 0x0
	v_and_b32_e32 v13, 0xffff, v13
	s_wait_alu 0xfffe
	s_delay_alu instid0(VALU_DEP_1) | instskip(SKIP_3) | instid1(VALU_DEP_2)
	v_lshlrev_b64_e32 v[13:14], s0, v[13:14]
	s_add_nc_u64 s[0:1], s[0:1], 8
	s_wait_alu 0xfffe
	v_cmp_eq_u32_e32 vcc_lo, s0, v12
	v_or_b32_e32 v3, v14, v3
	s_delay_alu instid0(VALU_DEP_3)
	v_or_b32_e32 v2, v13, v2
	s_or_b32 s10, vcc_lo, s10
	s_wait_alu 0xfffe
	s_and_not1_b32 exec_lo, exec_lo, s10
	s_cbranch_execnz .LBB27_34
; %bb.35:                               ;   in Loop: Header=BB27_31 Depth=1
	s_or_b32 exec_lo, exec_lo, s10
.LBB27_36:                              ;   in Loop: Header=BB27_31 Depth=1
	s_wait_alu 0xfffe
	s_or_b32 exec_lo, exec_lo, s5
	v_mov_b32_e32 v14, v39
.LBB27_37:                              ;   in Loop: Header=BB27_31 Depth=1
	s_wait_alu 0xfffe
	s_or_saveexec_b32 s0, s4
	v_mov_b32_e32 v15, 0
	s_wait_alu 0xfffe
	s_xor_b32 exec_lo, exec_lo, s0
	s_cbranch_execz .LBB27_39
; %bb.38:                               ;   in Loop: Header=BB27_31 Depth=1
	scratch_load_b64 v[2:3], v39, off
	v_add_nc_u32_e32 v15, -8, v30
.LBB27_39:                              ;   in Loop: Header=BB27_31 Depth=1
	s_or_b32 exec_lo, exec_lo, s0
	v_add_nc_u32_e32 v8, 8, v14
                                        ; implicit-def: $vgpr12_vgpr13
	s_mov_b32 s0, exec_lo
	s_delay_alu instid0(VALU_DEP_2)
	v_cmpx_gt_u32_e32 8, v15
	s_wait_alu 0xfffe
	s_xor_b32 s4, exec_lo, s0
	s_cbranch_execz .LBB27_45
; %bb.40:                               ;   in Loop: Header=BB27_31 Depth=1
	v_mov_b32_e32 v12, 0
	v_mov_b32_e32 v13, 0
	s_mov_b32 s5, exec_lo
	v_cmpx_ne_u32_e32 0, v15
	s_cbranch_execz .LBB27_44
; %bb.41:                               ;   in Loop: Header=BB27_31 Depth=1
	v_mov_b32_e32 v12, 0
	v_mov_b32_e32 v13, 0
	s_mov_b64 s[0:1], 0
	s_mov_b32 s10, 0
	s_mov_b32 s11, 0
.LBB27_42:                              ;   Parent Loop BB27_31 Depth=1
                                        ; =>  This Inner Loop Header: Depth=2
	scratch_load_u8 v8, v14, s11
	v_mov_b32_e32 v17, s7
	s_wait_alu 0xfffe
	s_add_co_i32 s11, s11, 1
	s_wait_alu 0xfffe
	v_cmp_eq_u32_e32 vcc_lo, s11, v15
	s_or_b32 s10, vcc_lo, s10
	s_wait_loadcnt 0x0
	v_and_b32_e32 v16, 0xffff, v8
	s_delay_alu instid0(VALU_DEP_1) | instskip(SKIP_1) | instid1(VALU_DEP_1)
	v_lshlrev_b64_e32 v[16:17], s0, v[16:17]
	s_add_nc_u64 s[0:1], s[0:1], 8
	v_or_b32_e32 v13, v17, v13
	s_delay_alu instid0(VALU_DEP_2)
	v_or_b32_e32 v12, v16, v12
	s_wait_alu 0xfffe
	s_and_not1_b32 exec_lo, exec_lo, s10
	s_cbranch_execnz .LBB27_42
; %bb.43:                               ;   in Loop: Header=BB27_31 Depth=1
	s_or_b32 exec_lo, exec_lo, s10
.LBB27_44:                              ;   in Loop: Header=BB27_31 Depth=1
	s_wait_alu 0xfffe
	s_or_b32 exec_lo, exec_lo, s5
	v_mov_b32_e32 v8, v14
                                        ; implicit-def: $vgpr15
.LBB27_45:                              ;   in Loop: Header=BB27_31 Depth=1
	s_wait_alu 0xfffe
	s_or_saveexec_b32 s0, s4
	v_mov_b32_e32 v16, 0
	s_wait_alu 0xfffe
	s_xor_b32 exec_lo, exec_lo, s0
	s_cbranch_execz .LBB27_47
; %bb.46:                               ;   in Loop: Header=BB27_31 Depth=1
	scratch_load_b64 v[12:13], v14, off
	v_add_nc_u32_e32 v16, -8, v15
.LBB27_47:                              ;   in Loop: Header=BB27_31 Depth=1
	s_or_b32 exec_lo, exec_lo, s0
	v_add_nc_u32_e32 v18, 8, v8
	s_mov_b32 s0, exec_lo
	s_delay_alu instid0(VALU_DEP_2)
	v_cmpx_gt_u32_e32 8, v16
	s_wait_alu 0xfffe
	s_xor_b32 s4, exec_lo, s0
	s_cbranch_execz .LBB27_53
; %bb.48:                               ;   in Loop: Header=BB27_31 Depth=1
	v_mov_b32_e32 v14, 0
	v_mov_b32_e32 v15, 0
	s_mov_b32 s5, exec_lo
	v_cmpx_ne_u32_e32 0, v16
	s_cbranch_execz .LBB27_52
; %bb.49:                               ;   in Loop: Header=BB27_31 Depth=1
	v_mov_b32_e32 v14, 0
	v_mov_b32_e32 v15, 0
	s_mov_b64 s[0:1], 0
	s_mov_b32 s10, 0
	s_mov_b32 s11, 0
.LBB27_50:                              ;   Parent Loop BB27_31 Depth=1
                                        ; =>  This Inner Loop Header: Depth=2
	scratch_load_u8 v17, v8, s11
	v_mov_b32_e32 v18, s7
	s_wait_alu 0xfffe
	s_add_co_i32 s11, s11, 1
	s_wait_alu 0xfffe
	v_cmp_eq_u32_e32 vcc_lo, s11, v16
	s_or_b32 s10, vcc_lo, s10
	s_wait_loadcnt 0x0
	v_and_b32_e32 v17, 0xffff, v17
	s_delay_alu instid0(VALU_DEP_1) | instskip(SKIP_1) | instid1(VALU_DEP_1)
	v_lshlrev_b64_e32 v[17:18], s0, v[17:18]
	s_add_nc_u64 s[0:1], s[0:1], 8
	v_or_b32_e32 v15, v18, v15
	s_delay_alu instid0(VALU_DEP_2)
	v_or_b32_e32 v14, v17, v14
	s_wait_alu 0xfffe
	s_and_not1_b32 exec_lo, exec_lo, s10
	s_cbranch_execnz .LBB27_50
; %bb.51:                               ;   in Loop: Header=BB27_31 Depth=1
	s_or_b32 exec_lo, exec_lo, s10
.LBB27_52:                              ;   in Loop: Header=BB27_31 Depth=1
	s_wait_alu 0xfffe
	s_or_b32 exec_lo, exec_lo, s5
	v_mov_b32_e32 v18, v8
                                        ; implicit-def: $vgpr16
.LBB27_53:                              ;   in Loop: Header=BB27_31 Depth=1
	s_wait_alu 0xfffe
	s_or_saveexec_b32 s0, s4
	v_mov_b32_e32 v19, 0
	s_wait_alu 0xfffe
	s_xor_b32 exec_lo, exec_lo, s0
	s_cbranch_execz .LBB27_55
; %bb.54:                               ;   in Loop: Header=BB27_31 Depth=1
	scratch_load_b64 v[14:15], v8, off
	v_add_nc_u32_e32 v19, -8, v16
.LBB27_55:                              ;   in Loop: Header=BB27_31 Depth=1
	s_or_b32 exec_lo, exec_lo, s0
	v_add_nc_u32_e32 v8, 8, v18
                                        ; implicit-def: $vgpr16_vgpr17
	s_mov_b32 s0, exec_lo
	s_delay_alu instid0(VALU_DEP_2)
	v_cmpx_gt_u32_e32 8, v19
	s_wait_alu 0xfffe
	s_xor_b32 s4, exec_lo, s0
	s_cbranch_execz .LBB27_61
; %bb.56:                               ;   in Loop: Header=BB27_31 Depth=1
	v_mov_b32_e32 v16, 0
	v_mov_b32_e32 v17, 0
	s_mov_b32 s5, exec_lo
	v_cmpx_ne_u32_e32 0, v19
	s_cbranch_execz .LBB27_60
; %bb.57:                               ;   in Loop: Header=BB27_31 Depth=1
	v_mov_b32_e32 v16, 0
	v_mov_b32_e32 v17, 0
	s_mov_b64 s[0:1], 0
	s_mov_b32 s10, 0
	s_mov_b32 s11, 0
.LBB27_58:                              ;   Parent Loop BB27_31 Depth=1
                                        ; =>  This Inner Loop Header: Depth=2
	scratch_load_u8 v8, v18, s11
	v_mov_b32_e32 v21, s7
	s_wait_alu 0xfffe
	s_add_co_i32 s11, s11, 1
	s_wait_alu 0xfffe
	v_cmp_eq_u32_e32 vcc_lo, s11, v19
	s_or_b32 s10, vcc_lo, s10
	s_wait_loadcnt 0x0
	v_and_b32_e32 v20, 0xffff, v8
	s_delay_alu instid0(VALU_DEP_1) | instskip(SKIP_1) | instid1(VALU_DEP_1)
	v_lshlrev_b64_e32 v[20:21], s0, v[20:21]
	s_add_nc_u64 s[0:1], s[0:1], 8
	v_or_b32_e32 v17, v21, v17
	s_delay_alu instid0(VALU_DEP_2)
	v_or_b32_e32 v16, v20, v16
	s_wait_alu 0xfffe
	s_and_not1_b32 exec_lo, exec_lo, s10
	s_cbranch_execnz .LBB27_58
; %bb.59:                               ;   in Loop: Header=BB27_31 Depth=1
	s_or_b32 exec_lo, exec_lo, s10
.LBB27_60:                              ;   in Loop: Header=BB27_31 Depth=1
	s_wait_alu 0xfffe
	s_or_b32 exec_lo, exec_lo, s5
	v_mov_b32_e32 v8, v18
                                        ; implicit-def: $vgpr19
.LBB27_61:                              ;   in Loop: Header=BB27_31 Depth=1
	s_wait_alu 0xfffe
	s_or_saveexec_b32 s0, s4
	v_mov_b32_e32 v20, 0
	s_wait_alu 0xfffe
	s_xor_b32 exec_lo, exec_lo, s0
	s_cbranch_execz .LBB27_63
; %bb.62:                               ;   in Loop: Header=BB27_31 Depth=1
	scratch_load_b64 v[16:17], v18, off
	v_add_nc_u32_e32 v20, -8, v19
.LBB27_63:                              ;   in Loop: Header=BB27_31 Depth=1
	s_or_b32 exec_lo, exec_lo, s0
	v_add_nc_u32_e32 v22, 8, v8
	s_mov_b32 s0, exec_lo
	s_delay_alu instid0(VALU_DEP_2)
	v_cmpx_gt_u32_e32 8, v20
	s_wait_alu 0xfffe
	s_xor_b32 s4, exec_lo, s0
	s_cbranch_execz .LBB27_69
; %bb.64:                               ;   in Loop: Header=BB27_31 Depth=1
	v_mov_b32_e32 v18, 0
	v_mov_b32_e32 v19, 0
	s_mov_b32 s5, exec_lo
	v_cmpx_ne_u32_e32 0, v20
	s_cbranch_execz .LBB27_68
; %bb.65:                               ;   in Loop: Header=BB27_31 Depth=1
	v_mov_b32_e32 v18, 0
	v_mov_b32_e32 v19, 0
	s_mov_b64 s[0:1], 0
	s_mov_b32 s10, 0
	s_mov_b32 s11, 0
.LBB27_66:                              ;   Parent Loop BB27_31 Depth=1
                                        ; =>  This Inner Loop Header: Depth=2
	scratch_load_u8 v21, v8, s11
	v_mov_b32_e32 v22, s7
	s_wait_alu 0xfffe
	s_add_co_i32 s11, s11, 1
	s_wait_alu 0xfffe
	v_cmp_eq_u32_e32 vcc_lo, s11, v20
	s_or_b32 s10, vcc_lo, s10
	s_wait_loadcnt 0x0
	v_and_b32_e32 v21, 0xffff, v21
	s_delay_alu instid0(VALU_DEP_1) | instskip(SKIP_1) | instid1(VALU_DEP_1)
	v_lshlrev_b64_e32 v[21:22], s0, v[21:22]
	s_add_nc_u64 s[0:1], s[0:1], 8
	v_or_b32_e32 v19, v22, v19
	s_delay_alu instid0(VALU_DEP_2)
	v_or_b32_e32 v18, v21, v18
	s_wait_alu 0xfffe
	s_and_not1_b32 exec_lo, exec_lo, s10
	s_cbranch_execnz .LBB27_66
; %bb.67:                               ;   in Loop: Header=BB27_31 Depth=1
	s_or_b32 exec_lo, exec_lo, s10
.LBB27_68:                              ;   in Loop: Header=BB27_31 Depth=1
	s_wait_alu 0xfffe
	s_or_b32 exec_lo, exec_lo, s5
	v_mov_b32_e32 v22, v8
                                        ; implicit-def: $vgpr20
.LBB27_69:                              ;   in Loop: Header=BB27_31 Depth=1
	s_wait_alu 0xfffe
	s_or_saveexec_b32 s0, s4
	v_mov_b32_e32 v23, 0
	s_wait_alu 0xfffe
	s_xor_b32 exec_lo, exec_lo, s0
	s_cbranch_execz .LBB27_71
; %bb.70:                               ;   in Loop: Header=BB27_31 Depth=1
	scratch_load_b64 v[18:19], v8, off
	v_add_nc_u32_e32 v23, -8, v20
.LBB27_71:                              ;   in Loop: Header=BB27_31 Depth=1
	s_or_b32 exec_lo, exec_lo, s0
	v_add_nc_u32_e32 v8, 8, v22
                                        ; implicit-def: $vgpr20_vgpr21
	s_mov_b32 s0, exec_lo
	s_delay_alu instid0(VALU_DEP_2)
	v_cmpx_gt_u32_e32 8, v23
	s_wait_alu 0xfffe
	s_xor_b32 s4, exec_lo, s0
	s_cbranch_execz .LBB27_77
; %bb.72:                               ;   in Loop: Header=BB27_31 Depth=1
	v_mov_b32_e32 v20, 0
	v_mov_b32_e32 v21, 0
	s_mov_b32 s5, exec_lo
	v_cmpx_ne_u32_e32 0, v23
	s_cbranch_execz .LBB27_76
; %bb.73:                               ;   in Loop: Header=BB27_31 Depth=1
	v_mov_b32_e32 v20, 0
	v_mov_b32_e32 v21, 0
	s_mov_b64 s[0:1], 0
	s_mov_b32 s10, 0
	s_mov_b32 s11, 0
.LBB27_74:                              ;   Parent Loop BB27_31 Depth=1
                                        ; =>  This Inner Loop Header: Depth=2
	scratch_load_u8 v8, v22, s11
	v_mov_b32_e32 v25, s7
	s_wait_alu 0xfffe
	s_add_co_i32 s11, s11, 1
	s_wait_alu 0xfffe
	v_cmp_eq_u32_e32 vcc_lo, s11, v23
	s_or_b32 s10, vcc_lo, s10
	s_wait_loadcnt 0x0
	v_and_b32_e32 v24, 0xffff, v8
	s_delay_alu instid0(VALU_DEP_1) | instskip(SKIP_1) | instid1(VALU_DEP_1)
	v_lshlrev_b64_e32 v[24:25], s0, v[24:25]
	s_add_nc_u64 s[0:1], s[0:1], 8
	v_or_b32_e32 v21, v25, v21
	s_delay_alu instid0(VALU_DEP_2)
	v_or_b32_e32 v20, v24, v20
	s_wait_alu 0xfffe
	s_and_not1_b32 exec_lo, exec_lo, s10
	s_cbranch_execnz .LBB27_74
; %bb.75:                               ;   in Loop: Header=BB27_31 Depth=1
	s_or_b32 exec_lo, exec_lo, s10
.LBB27_76:                              ;   in Loop: Header=BB27_31 Depth=1
	s_wait_alu 0xfffe
	s_or_b32 exec_lo, exec_lo, s5
	v_mov_b32_e32 v8, v22
                                        ; implicit-def: $vgpr23
.LBB27_77:                              ;   in Loop: Header=BB27_31 Depth=1
	s_wait_alu 0xfffe
	s_or_saveexec_b32 s0, s4
	v_mov_b32_e32 v24, 0
	s_wait_alu 0xfffe
	s_xor_b32 exec_lo, exec_lo, s0
	s_cbranch_execz .LBB27_79
; %bb.78:                               ;   in Loop: Header=BB27_31 Depth=1
	scratch_load_b64 v[20:21], v22, off
	v_add_nc_u32_e32 v24, -8, v23
.LBB27_79:                              ;   in Loop: Header=BB27_31 Depth=1
	s_or_b32 exec_lo, exec_lo, s0
	s_delay_alu instid0(SALU_CYCLE_1) | instskip(NEXT) | instid1(VALU_DEP_1)
	s_mov_b32 s0, exec_lo
	v_cmpx_gt_u32_e32 8, v24
	s_wait_alu 0xfffe
	s_xor_b32 s4, exec_lo, s0
	s_cbranch_execz .LBB27_85
; %bb.80:                               ;   in Loop: Header=BB27_31 Depth=1
	v_mov_b32_e32 v22, 0
	v_mov_b32_e32 v23, 0
	s_mov_b32 s5, exec_lo
	v_cmpx_ne_u32_e32 0, v24
	s_cbranch_execz .LBB27_84
; %bb.81:                               ;   in Loop: Header=BB27_31 Depth=1
	v_mov_b32_e32 v22, 0
	v_mov_b32_e32 v23, 0
	s_mov_b64 s[0:1], 0
	s_mov_b32 s10, 0
.LBB27_82:                              ;   Parent Loop BB27_31 Depth=1
                                        ; =>  This Inner Loop Header: Depth=2
	scratch_load_u8 v25, v8, off
	v_mov_b32_e32 v26, s7
	v_add_nc_u32_e32 v24, -1, v24
	v_add_nc_u32_e32 v8, 1, v8
	s_delay_alu instid0(VALU_DEP_2) | instskip(SKIP_4) | instid1(VALU_DEP_1)
	v_cmp_eq_u32_e32 vcc_lo, 0, v24
	s_wait_alu 0xfffe
	s_or_b32 s10, vcc_lo, s10
	s_wait_loadcnt 0x0
	v_and_b32_e32 v25, 0xffff, v25
	v_lshlrev_b64_e32 v[25:26], s0, v[25:26]
	s_add_nc_u64 s[0:1], s[0:1], 8
	s_delay_alu instid0(VALU_DEP_1) | instskip(NEXT) | instid1(VALU_DEP_2)
	v_or_b32_e32 v23, v26, v23
	v_or_b32_e32 v22, v25, v22
	s_wait_alu 0xfffe
	s_and_not1_b32 exec_lo, exec_lo, s10
	s_cbranch_execnz .LBB27_82
; %bb.83:                               ;   in Loop: Header=BB27_31 Depth=1
	s_or_b32 exec_lo, exec_lo, s10
.LBB27_84:                              ;   in Loop: Header=BB27_31 Depth=1
	s_wait_alu 0xfffe
	s_or_b32 exec_lo, exec_lo, s5
                                        ; implicit-def: $vgpr8
.LBB27_85:                              ;   in Loop: Header=BB27_31 Depth=1
	s_wait_alu 0xfffe
	s_and_not1_saveexec_b32 s0, s4
	s_cbranch_execz .LBB27_87
; %bb.86:                               ;   in Loop: Header=BB27_31 Depth=1
	scratch_load_b64 v[22:23], v8, off
.LBB27_87:                              ;   in Loop: Header=BB27_31 Depth=1
	s_wait_alu 0xfffe
	s_or_b32 exec_lo, exec_lo, s0
	v_readfirstlane_b32 s0, v37
	v_mov_b32_e32 v32, 0
	v_mov_b32_e32 v33, 0
	s_wait_alu 0xf1ff
	s_delay_alu instid0(VALU_DEP_3)
	v_cmp_eq_u32_e64 s0, s0, v37
	s_and_saveexec_b32 s1, s0
	s_cbranch_execz .LBB27_93
; %bb.88:                               ;   in Loop: Header=BB27_31 Depth=1
	global_load_b64 v[26:27], v9, s[2:3] offset:24 scope:SCOPE_SYS
	s_wait_loadcnt 0x0
	global_inv scope:SCOPE_SYS
	s_clause 0x1
	global_load_b64 v[24:25], v9, s[2:3] offset:40
	global_load_b64 v[32:33], v9, s[2:3]
	s_mov_b32 s4, exec_lo
	s_wait_loadcnt 0x1
	v_and_b32_e32 v8, v25, v27
	v_and_b32_e32 v24, v24, v26
	s_delay_alu instid0(VALU_DEP_2) | instskip(NEXT) | instid1(VALU_DEP_2)
	v_mul_lo_u32 v8, 24, v8
	v_mul_lo_u32 v25, 0, v24
	v_mul_hi_u32 v34, 24, v24
	v_mul_lo_u32 v24, 24, v24
	s_delay_alu instid0(VALU_DEP_3) | instskip(SKIP_1) | instid1(VALU_DEP_2)
	v_add_nc_u32_e32 v8, v8, v25
	s_wait_loadcnt 0x0
	v_add_co_u32 v24, vcc_lo, v32, v24
	s_delay_alu instid0(VALU_DEP_2) | instskip(SKIP_1) | instid1(VALU_DEP_1)
	v_add_nc_u32_e32 v8, v8, v34
	s_wait_alu 0xfffd
	v_add_co_ci_u32_e64 v25, null, v33, v8, vcc_lo
	global_load_b64 v[24:25], v[24:25], off scope:SCOPE_SYS
	s_wait_loadcnt 0x0
	global_atomic_cmpswap_b64 v[32:33], v9, v[24:27], s[2:3] offset:24 th:TH_ATOMIC_RETURN scope:SCOPE_SYS
	s_wait_loadcnt 0x0
	global_inv scope:SCOPE_SYS
	v_cmpx_ne_u64_e64 v[32:33], v[26:27]
	s_cbranch_execz .LBB27_92
; %bb.89:                               ;   in Loop: Header=BB27_31 Depth=1
	s_mov_b32 s5, 0
.LBB27_90:                              ;   Parent Loop BB27_31 Depth=1
                                        ; =>  This Inner Loop Header: Depth=2
	s_sleep 1
	s_clause 0x1
	global_load_b64 v[24:25], v9, s[2:3] offset:40
	global_load_b64 v[34:35], v9, s[2:3]
	v_dual_mov_b32 v26, v32 :: v_dual_mov_b32 v27, v33
	s_wait_loadcnt 0x1
	s_delay_alu instid0(VALU_DEP_1) | instskip(NEXT) | instid1(VALU_DEP_2)
	v_and_b32_e32 v8, v24, v26
	v_and_b32_e32 v24, v25, v27
	s_wait_loadcnt 0x0
	s_delay_alu instid0(VALU_DEP_2) | instskip(NEXT) | instid1(VALU_DEP_1)
	v_mad_co_u64_u32 v[32:33], null, v8, 24, v[34:35]
	v_mov_b32_e32 v8, v33
	s_delay_alu instid0(VALU_DEP_1) | instskip(NEXT) | instid1(VALU_DEP_1)
	v_mad_co_u64_u32 v[24:25], null, v24, 24, v[8:9]
	v_mov_b32_e32 v33, v24
	global_load_b64 v[24:25], v[32:33], off scope:SCOPE_SYS
	s_wait_loadcnt 0x0
	global_atomic_cmpswap_b64 v[32:33], v9, v[24:27], s[2:3] offset:24 th:TH_ATOMIC_RETURN scope:SCOPE_SYS
	s_wait_loadcnt 0x0
	global_inv scope:SCOPE_SYS
	v_cmp_eq_u64_e32 vcc_lo, v[32:33], v[26:27]
	s_wait_alu 0xfffe
	s_or_b32 s5, vcc_lo, s5
	s_wait_alu 0xfffe
	s_and_not1_b32 exec_lo, exec_lo, s5
	s_cbranch_execnz .LBB27_90
; %bb.91:                               ;   in Loop: Header=BB27_31 Depth=1
	s_or_b32 exec_lo, exec_lo, s5
.LBB27_92:                              ;   in Loop: Header=BB27_31 Depth=1
	s_wait_alu 0xfffe
	s_or_b32 exec_lo, exec_lo, s4
.LBB27_93:                              ;   in Loop: Header=BB27_31 Depth=1
	s_wait_alu 0xfffe
	s_or_b32 exec_lo, exec_lo, s1
	s_clause 0x1
	global_load_b64 v[34:35], v9, s[2:3] offset:40
	global_load_b128 v[24:27], v9, s[2:3]
	v_readfirstlane_b32 s5, v33
	v_readfirstlane_b32 s4, v32
	s_mov_b32 s1, exec_lo
	s_wait_loadcnt 0x1
	s_wait_alu 0xf1ff
	v_and_b32_e32 v35, s5, v35
	v_and_b32_e32 v34, s4, v34
	s_delay_alu instid0(VALU_DEP_2) | instskip(NEXT) | instid1(VALU_DEP_2)
	v_mul_lo_u32 v8, 24, v35
	v_mul_lo_u32 v32, 0, v34
	v_mul_hi_u32 v33, 24, v34
	v_mul_lo_u32 v48, 24, v34
	s_delay_alu instid0(VALU_DEP_3) | instskip(SKIP_1) | instid1(VALU_DEP_2)
	v_add_nc_u32_e32 v8, v8, v32
	s_wait_loadcnt 0x0
	v_add_co_u32 v32, vcc_lo, v24, v48
	s_delay_alu instid0(VALU_DEP_2) | instskip(SKIP_1) | instid1(VALU_DEP_1)
	v_add_nc_u32_e32 v8, v8, v33
	s_wait_alu 0xfffd
	v_add_co_ci_u32_e64 v33, null, v25, v8, vcc_lo
	s_and_saveexec_b32 s10, s0
	s_cbranch_execz .LBB27_95
; %bb.94:                               ;   in Loop: Header=BB27_31 Depth=1
	s_wait_alu 0xfffe
	v_mov_b32_e32 v8, s1
	global_store_b128 v[32:33], v[8:11], off offset:8
.LBB27_95:                              ;   in Loop: Header=BB27_31 Depth=1
	s_wait_alu 0xfffe
	s_or_b32 exec_lo, exec_lo, s10
	v_cmp_gt_u64_e32 vcc_lo, 57, v[28:29]
	v_lshlrev_b64_e32 v[34:35], 12, v[34:35]
	v_and_b32_e32 v0, 0xffffff1f, v0
	v_lshl_add_u32 v48, v30, 2, 28
	s_wait_alu 0xfffd
	v_cndmask_b32_e32 v8, 0, v38, vcc_lo
	s_delay_alu instid0(VALU_DEP_4) | instskip(SKIP_2) | instid1(VALU_DEP_3)
	v_add_co_u32 v26, vcc_lo, v26, v34
	s_wait_alu 0xfffd
	v_add_co_ci_u32_e64 v27, null, v27, v35, vcc_lo
	v_or_b32_e32 v0, v0, v8
	s_delay_alu instid0(VALU_DEP_3) | instskip(NEXT) | instid1(VALU_DEP_3)
	v_readfirstlane_b32 s10, v26
	v_readfirstlane_b32 s11, v27
	s_delay_alu instid0(VALU_DEP_3)
	v_and_or_b32 v0, 0x1e0, v48, v0
	s_clause 0x3
	global_store_b128 v36, v[0:3], s[10:11]
	global_store_b128 v36, v[12:15], s[10:11] offset:16
	global_store_b128 v36, v[16:19], s[10:11] offset:32
	;; [unrolled: 1-line block ×3, first 2 shown]
	s_and_saveexec_b32 s1, s0
	s_cbranch_execz .LBB27_103
; %bb.96:                               ;   in Loop: Header=BB27_31 Depth=1
	s_clause 0x1
	global_load_b64 v[16:17], v9, s[2:3] offset:32 scope:SCOPE_SYS
	global_load_b64 v[0:1], v9, s[2:3] offset:40
	s_mov_b32 s10, exec_lo
	v_dual_mov_b32 v14, s4 :: v_dual_mov_b32 v15, s5
	s_wait_loadcnt 0x0
	v_and_b32_e32 v0, s4, v0
	v_and_b32_e32 v1, s5, v1
	s_delay_alu instid0(VALU_DEP_2) | instskip(NEXT) | instid1(VALU_DEP_2)
	v_mul_lo_u32 v2, 0, v0
	v_mul_lo_u32 v1, 24, v1
	v_mul_hi_u32 v3, 24, v0
	v_mul_lo_u32 v0, 24, v0
	s_delay_alu instid0(VALU_DEP_3) | instskip(NEXT) | instid1(VALU_DEP_2)
	v_add_nc_u32_e32 v1, v1, v2
	v_add_co_u32 v12, vcc_lo, v24, v0
	s_delay_alu instid0(VALU_DEP_2) | instskip(SKIP_1) | instid1(VALU_DEP_1)
	v_add_nc_u32_e32 v1, v1, v3
	s_wait_alu 0xfffd
	v_add_co_ci_u32_e64 v13, null, v25, v1, vcc_lo
	global_store_b64 v[12:13], v[16:17], off
	global_wb scope:SCOPE_SYS
	s_wait_storecnt 0x0
	global_atomic_cmpswap_b64 v[2:3], v9, v[14:17], s[2:3] offset:32 th:TH_ATOMIC_RETURN scope:SCOPE_SYS
	s_wait_loadcnt 0x0
	v_cmpx_ne_u64_e64 v[2:3], v[16:17]
	s_cbranch_execz .LBB27_99
; %bb.97:                               ;   in Loop: Header=BB27_31 Depth=1
	s_mov_b32 s11, 0
.LBB27_98:                              ;   Parent Loop BB27_31 Depth=1
                                        ; =>  This Inner Loop Header: Depth=2
	v_dual_mov_b32 v0, s4 :: v_dual_mov_b32 v1, s5
	s_sleep 1
	global_store_b64 v[12:13], v[2:3], off
	global_wb scope:SCOPE_SYS
	s_wait_storecnt 0x0
	global_atomic_cmpswap_b64 v[0:1], v9, v[0:3], s[2:3] offset:32 th:TH_ATOMIC_RETURN scope:SCOPE_SYS
	s_wait_loadcnt 0x0
	v_cmp_eq_u64_e32 vcc_lo, v[0:1], v[2:3]
	v_dual_mov_b32 v3, v1 :: v_dual_mov_b32 v2, v0
	s_wait_alu 0xfffe
	s_or_b32 s11, vcc_lo, s11
	s_wait_alu 0xfffe
	s_and_not1_b32 exec_lo, exec_lo, s11
	s_cbranch_execnz .LBB27_98
.LBB27_99:                              ;   in Loop: Header=BB27_31 Depth=1
	s_wait_alu 0xfffe
	s_or_b32 exec_lo, exec_lo, s10
	global_load_b64 v[0:1], v9, s[2:3] offset:16
	s_mov_b32 s11, exec_lo
	s_mov_b32 s10, exec_lo
	s_wait_alu 0xfffe
	v_mbcnt_lo_u32_b32 v2, s11, 0
	s_delay_alu instid0(VALU_DEP_1)
	v_cmpx_eq_u32_e32 0, v2
	s_cbranch_execz .LBB27_101
; %bb.100:                              ;   in Loop: Header=BB27_31 Depth=1
	s_bcnt1_i32_b32 s11, s11
	s_wait_alu 0xfffe
	v_mov_b32_e32 v8, s11
	global_wb scope:SCOPE_SYS
	s_wait_loadcnt 0x0
	s_wait_storecnt 0x0
	global_atomic_add_u64 v[0:1], v[8:9], off offset:8 scope:SCOPE_SYS
.LBB27_101:                             ;   in Loop: Header=BB27_31 Depth=1
	s_or_b32 exec_lo, exec_lo, s10
	s_wait_loadcnt 0x0
	global_load_b64 v[2:3], v[0:1], off offset:16
	s_wait_loadcnt 0x0
	v_cmp_eq_u64_e32 vcc_lo, 0, v[2:3]
	s_cbranch_vccnz .LBB27_103
; %bb.102:                              ;   in Loop: Header=BB27_31 Depth=1
	global_load_b32 v8, v[0:1], off offset:24
	s_wait_loadcnt 0x0
	v_readfirstlane_b32 s10, v8
	global_wb scope:SCOPE_SYS
	s_wait_storecnt 0x0
	global_store_b64 v[2:3], v[8:9], off scope:SCOPE_SYS
	s_and_b32 m0, s10, 0xffffff
	s_sendmsg sendmsg(MSG_INTERRUPT)
.LBB27_103:                             ;   in Loop: Header=BB27_31 Depth=1
	s_wait_alu 0xfffe
	s_or_b32 exec_lo, exec_lo, s1
	v_add_co_u32 v0, vcc_lo, v26, v36
	s_wait_alu 0xfffd
	v_add_co_ci_u32_e64 v1, null, 0, v27, vcc_lo
	s_branch .LBB27_107
.LBB27_104:                             ;   in Loop: Header=BB27_107 Depth=2
	s_wait_alu 0xfffe
	s_or_b32 exec_lo, exec_lo, s1
	s_delay_alu instid0(VALU_DEP_1)
	v_readfirstlane_b32 s1, v2
	s_cmp_eq_u32 s1, 0
	s_cbranch_scc1 .LBB27_106
; %bb.105:                              ;   in Loop: Header=BB27_107 Depth=2
	s_sleep 1
	s_cbranch_execnz .LBB27_107
	s_branch .LBB27_109
.LBB27_106:                             ;   in Loop: Header=BB27_31 Depth=1
	s_branch .LBB27_109
.LBB27_107:                             ;   Parent Loop BB27_31 Depth=1
                                        ; =>  This Inner Loop Header: Depth=2
	v_mov_b32_e32 v2, 1
	s_and_saveexec_b32 s1, s0
	s_cbranch_execz .LBB27_104
; %bb.108:                              ;   in Loop: Header=BB27_107 Depth=2
	global_load_b32 v2, v[32:33], off offset:20 scope:SCOPE_SYS
	s_wait_loadcnt 0x0
	global_inv scope:SCOPE_SYS
	v_and_b32_e32 v2, 1, v2
	s_branch .LBB27_104
.LBB27_109:                             ;   in Loop: Header=BB27_31 Depth=1
	global_load_b64 v[0:1], v[0:1], off
	s_and_saveexec_b32 s10, s0
	s_cbranch_execz .LBB27_30
; %bb.110:                              ;   in Loop: Header=BB27_31 Depth=1
	s_clause 0x2
	global_load_b64 v[2:3], v9, s[2:3] offset:40
	global_load_b64 v[16:17], v9, s[2:3] offset:24 scope:SCOPE_SYS
	global_load_b64 v[12:13], v9, s[2:3]
	s_wait_loadcnt 0x2
	v_readfirstlane_b32 s12, v2
	v_readfirstlane_b32 s13, v3
	s_add_nc_u64 s[0:1], s[12:13], 1
	s_wait_alu 0xfffe
	s_add_nc_u64 s[4:5], s[0:1], s[4:5]
	s_wait_alu 0xfffe
	s_cmp_eq_u64 s[4:5], 0
	s_cselect_b32 s1, s1, s5
	s_cselect_b32 s0, s0, s4
	s_wait_alu 0xfffe
	v_dual_mov_b32 v15, s1 :: v_dual_mov_b32 v14, s0
	s_and_b64 s[4:5], s[0:1], s[12:13]
	s_wait_alu 0xfffe
	s_mul_u64 s[4:5], s[4:5], 24
	s_wait_loadcnt 0x0
	s_wait_alu 0xfffe
	v_add_co_u32 v2, vcc_lo, v12, s4
	s_wait_alu 0xfffd
	v_add_co_ci_u32_e64 v3, null, s5, v13, vcc_lo
	global_store_b64 v[2:3], v[16:17], off
	global_wb scope:SCOPE_SYS
	s_wait_storecnt 0x0
	global_atomic_cmpswap_b64 v[14:15], v9, v[14:17], s[2:3] offset:24 th:TH_ATOMIC_RETURN scope:SCOPE_SYS
	s_wait_loadcnt 0x0
	v_cmp_ne_u64_e32 vcc_lo, v[14:15], v[16:17]
	s_and_b32 exec_lo, exec_lo, vcc_lo
	s_cbranch_execz .LBB27_30
; %bb.111:                              ;   in Loop: Header=BB27_31 Depth=1
	s_mov_b32 s4, 0
.LBB27_112:                             ;   Parent Loop BB27_31 Depth=1
                                        ; =>  This Inner Loop Header: Depth=2
	v_dual_mov_b32 v12, s0 :: v_dual_mov_b32 v13, s1
	s_sleep 1
	global_store_b64 v[2:3], v[14:15], off
	global_wb scope:SCOPE_SYS
	s_wait_storecnt 0x0
	global_atomic_cmpswap_b64 v[12:13], v9, v[12:15], s[2:3] offset:24 th:TH_ATOMIC_RETURN scope:SCOPE_SYS
	s_wait_loadcnt 0x0
	v_cmp_eq_u64_e32 vcc_lo, v[12:13], v[14:15]
	v_dual_mov_b32 v15, v13 :: v_dual_mov_b32 v14, v12
	s_wait_alu 0xfffe
	s_or_b32 s4, vcc_lo, s4
	s_wait_alu 0xfffe
	s_and_not1_b32 exec_lo, exec_lo, s4
	s_cbranch_execnz .LBB27_112
	s_branch .LBB27_30
.LBB27_113:
                                        ; implicit-def: $vgpr0_vgpr1
	s_cbranch_execnz .LBB27_115
	s_branch .LBB27_142
.LBB27_114:
	s_or_b32 exec_lo, exec_lo, s6
	s_branch .LBB27_142
.LBB27_115:
	v_readfirstlane_b32 s0, v37
	v_mov_b32_e32 v9, 0
	v_mov_b32_e32 v10, 0
	s_wait_alu 0xf1ff
	s_delay_alu instid0(VALU_DEP_3)
	v_cmp_eq_u32_e64 s0, s0, v37
	s_and_saveexec_b32 s1, s0
	s_cbranch_execz .LBB27_121
; %bb.116:
	s_wait_loadcnt 0x0
	v_mov_b32_e32 v0, 0
	s_mov_b32 s4, exec_lo
	global_load_b64 v[11:12], v0, s[2:3] offset:24 scope:SCOPE_SYS
	s_wait_loadcnt 0x0
	global_inv scope:SCOPE_SYS
	s_clause 0x1
	global_load_b64 v[1:2], v0, s[2:3] offset:40
	global_load_b64 v[8:9], v0, s[2:3]
	s_wait_loadcnt 0x1
	v_and_b32_e32 v2, v2, v12
	v_and_b32_e32 v1, v1, v11
	s_delay_alu instid0(VALU_DEP_2) | instskip(NEXT) | instid1(VALU_DEP_2)
	v_mul_lo_u32 v2, 24, v2
	v_mul_lo_u32 v3, 0, v1
	v_mul_hi_u32 v10, 24, v1
	v_mul_lo_u32 v1, 24, v1
	s_delay_alu instid0(VALU_DEP_3) | instskip(SKIP_1) | instid1(VALU_DEP_2)
	v_add_nc_u32_e32 v2, v2, v3
	s_wait_loadcnt 0x0
	v_add_co_u32 v1, vcc_lo, v8, v1
	s_delay_alu instid0(VALU_DEP_2) | instskip(SKIP_1) | instid1(VALU_DEP_1)
	v_add_nc_u32_e32 v2, v2, v10
	s_wait_alu 0xfffd
	v_add_co_ci_u32_e64 v2, null, v9, v2, vcc_lo
	global_load_b64 v[9:10], v[1:2], off scope:SCOPE_SYS
	s_wait_loadcnt 0x0
	global_atomic_cmpswap_b64 v[9:10], v0, v[9:12], s[2:3] offset:24 th:TH_ATOMIC_RETURN scope:SCOPE_SYS
	s_wait_loadcnt 0x0
	global_inv scope:SCOPE_SYS
	v_cmpx_ne_u64_e64 v[9:10], v[11:12]
	s_cbranch_execz .LBB27_120
; %bb.117:
	s_mov_b32 s5, 0
.LBB27_118:                             ; =>This Inner Loop Header: Depth=1
	s_sleep 1
	s_clause 0x1
	global_load_b64 v[1:2], v0, s[2:3] offset:40
	global_load_b64 v[13:14], v0, s[2:3]
	v_dual_mov_b32 v12, v10 :: v_dual_mov_b32 v11, v9
	s_wait_loadcnt 0x1
	s_delay_alu instid0(VALU_DEP_1) | instskip(SKIP_1) | instid1(VALU_DEP_1)
	v_and_b32_e32 v1, v1, v11
	s_wait_loadcnt 0x0
	v_mad_co_u64_u32 v[8:9], null, v1, 24, v[13:14]
	s_delay_alu instid0(VALU_DEP_1) | instskip(NEXT) | instid1(VALU_DEP_1)
	v_dual_mov_b32 v1, v9 :: v_dual_and_b32 v2, v2, v12
	v_mad_co_u64_u32 v[1:2], null, v2, 24, v[1:2]
	s_delay_alu instid0(VALU_DEP_1)
	v_mov_b32_e32 v9, v1
	global_load_b64 v[9:10], v[8:9], off scope:SCOPE_SYS
	s_wait_loadcnt 0x0
	global_atomic_cmpswap_b64 v[9:10], v0, v[9:12], s[2:3] offset:24 th:TH_ATOMIC_RETURN scope:SCOPE_SYS
	s_wait_loadcnt 0x0
	global_inv scope:SCOPE_SYS
	v_cmp_eq_u64_e32 vcc_lo, v[9:10], v[11:12]
	s_wait_alu 0xfffe
	s_or_b32 s5, vcc_lo, s5
	s_wait_alu 0xfffe
	s_and_not1_b32 exec_lo, exec_lo, s5
	s_cbranch_execnz .LBB27_118
; %bb.119:
	s_or_b32 exec_lo, exec_lo, s5
.LBB27_120:
	s_wait_alu 0xfffe
	s_or_b32 exec_lo, exec_lo, s4
.LBB27_121:
	s_wait_alu 0xfffe
	s_or_b32 exec_lo, exec_lo, s1
	v_readfirstlane_b32 s5, v10
	v_mov_b32_e32 v8, 0
	v_readfirstlane_b32 s4, v9
	s_mov_b32 s1, exec_lo
	global_load_b64 v[11:12], v8, s[2:3] offset:40
	s_wait_loadcnt 0x1
	global_load_b128 v[0:3], v8, s[2:3]
	s_wait_loadcnt 0x1
	s_wait_alu 0xf1ff
	v_and_b32_e32 v13, s5, v12
	v_and_b32_e32 v12, s4, v11
	s_delay_alu instid0(VALU_DEP_2) | instskip(NEXT) | instid1(VALU_DEP_2)
	v_mul_lo_u32 v9, 24, v13
	v_mul_lo_u32 v10, 0, v12
	v_mul_hi_u32 v11, 24, v12
	v_mul_lo_u32 v14, 24, v12
	s_delay_alu instid0(VALU_DEP_3) | instskip(SKIP_1) | instid1(VALU_DEP_2)
	v_add_nc_u32_e32 v9, v9, v10
	s_wait_loadcnt 0x0
	v_add_co_u32 v10, vcc_lo, v0, v14
	s_delay_alu instid0(VALU_DEP_2) | instskip(SKIP_1) | instid1(VALU_DEP_1)
	v_add_nc_u32_e32 v9, v9, v11
	s_wait_alu 0xfffd
	v_add_co_ci_u32_e64 v11, null, v1, v9, vcc_lo
	s_and_saveexec_b32 s6, s0
	s_cbranch_execz .LBB27_123
; %bb.122:
	s_wait_alu 0xfffe
	v_dual_mov_b32 v14, s1 :: v_dual_mov_b32 v15, v8
	v_dual_mov_b32 v16, 2 :: v_dual_mov_b32 v17, 1
	global_store_b128 v[10:11], v[14:17], off offset:8
.LBB27_123:
	s_wait_alu 0xfffe
	s_or_b32 exec_lo, exec_lo, s6
	v_lshlrev_b64_e32 v[12:13], 12, v[12:13]
	s_mov_b32 s12, 0
	v_and_or_b32 v6, 0xffffff1f, v6, 32
	s_wait_alu 0xfffe
	s_mov_b32 s15, s12
	s_mov_b32 s13, s12
	;; [unrolled: 1-line block ×3, first 2 shown]
	v_add_co_u32 v2, vcc_lo, v2, v12
	s_wait_alu 0xfffd
	v_add_co_ci_u32_e64 v3, null, v3, v13, vcc_lo
	v_mov_b32_e32 v9, v8
	s_delay_alu instid0(VALU_DEP_3) | instskip(SKIP_1) | instid1(VALU_DEP_4)
	v_add_co_u32 v12, vcc_lo, v2, v36
	v_readfirstlane_b32 s6, v2
	v_readfirstlane_b32 s7, v3
	s_wait_alu 0xfffe
	v_dual_mov_b32 v17, s15 :: v_dual_mov_b32 v14, s12
	s_wait_alu 0xfffd
	v_add_co_ci_u32_e64 v13, null, 0, v3, vcc_lo
	v_dual_mov_b32 v16, s14 :: v_dual_mov_b32 v15, s13
	s_clause 0x3
	global_store_b128 v36, v[6:9], s[6:7]
	global_store_b128 v36, v[14:17], s[6:7] offset:16
	global_store_b128 v36, v[14:17], s[6:7] offset:32
	;; [unrolled: 1-line block ×3, first 2 shown]
	s_and_saveexec_b32 s1, s0
	s_cbranch_execz .LBB27_131
; %bb.124:
	v_mov_b32_e32 v8, 0
	s_mov_b32 s6, exec_lo
	s_clause 0x1
	global_load_b64 v[16:17], v8, s[2:3] offset:32 scope:SCOPE_SYS
	global_load_b64 v[2:3], v8, s[2:3] offset:40
	v_dual_mov_b32 v15, s5 :: v_dual_mov_b32 v14, s4
	s_wait_loadcnt 0x0
	v_and_b32_e32 v3, s5, v3
	v_and_b32_e32 v2, s4, v2
	s_delay_alu instid0(VALU_DEP_2) | instskip(NEXT) | instid1(VALU_DEP_2)
	v_mul_lo_u32 v3, 24, v3
	v_mul_lo_u32 v6, 0, v2
	v_mul_hi_u32 v7, 24, v2
	v_mul_lo_u32 v2, 24, v2
	s_delay_alu instid0(VALU_DEP_3) | instskip(NEXT) | instid1(VALU_DEP_2)
	v_add_nc_u32_e32 v3, v3, v6
	v_add_co_u32 v6, vcc_lo, v0, v2
	s_delay_alu instid0(VALU_DEP_2) | instskip(SKIP_1) | instid1(VALU_DEP_1)
	v_add_nc_u32_e32 v3, v3, v7
	s_wait_alu 0xfffd
	v_add_co_ci_u32_e64 v7, null, v1, v3, vcc_lo
	global_store_b64 v[6:7], v[16:17], off
	global_wb scope:SCOPE_SYS
	s_wait_storecnt 0x0
	global_atomic_cmpswap_b64 v[2:3], v8, v[14:17], s[2:3] offset:32 th:TH_ATOMIC_RETURN scope:SCOPE_SYS
	s_wait_loadcnt 0x0
	v_cmpx_ne_u64_e64 v[2:3], v[16:17]
	s_cbranch_execz .LBB27_127
; %bb.125:
	s_mov_b32 s7, 0
.LBB27_126:                             ; =>This Inner Loop Header: Depth=1
	v_dual_mov_b32 v0, s4 :: v_dual_mov_b32 v1, s5
	s_sleep 1
	global_store_b64 v[6:7], v[2:3], off
	global_wb scope:SCOPE_SYS
	s_wait_storecnt 0x0
	global_atomic_cmpswap_b64 v[0:1], v8, v[0:3], s[2:3] offset:32 th:TH_ATOMIC_RETURN scope:SCOPE_SYS
	s_wait_loadcnt 0x0
	v_cmp_eq_u64_e32 vcc_lo, v[0:1], v[2:3]
	v_dual_mov_b32 v3, v1 :: v_dual_mov_b32 v2, v0
	s_wait_alu 0xfffe
	s_or_b32 s7, vcc_lo, s7
	s_wait_alu 0xfffe
	s_and_not1_b32 exec_lo, exec_lo, s7
	s_cbranch_execnz .LBB27_126
.LBB27_127:
	s_wait_alu 0xfffe
	s_or_b32 exec_lo, exec_lo, s6
	v_mov_b32_e32 v3, 0
	s_mov_b32 s7, exec_lo
	s_mov_b32 s6, exec_lo
	s_wait_alu 0xfffe
	v_mbcnt_lo_u32_b32 v2, s7, 0
	global_load_b64 v[0:1], v3, s[2:3] offset:16
	v_cmpx_eq_u32_e32 0, v2
	s_cbranch_execz .LBB27_129
; %bb.128:
	s_bcnt1_i32_b32 s7, s7
	s_wait_alu 0xfffe
	v_mov_b32_e32 v2, s7
	global_wb scope:SCOPE_SYS
	s_wait_loadcnt 0x0
	s_wait_storecnt 0x0
	global_atomic_add_u64 v[0:1], v[2:3], off offset:8 scope:SCOPE_SYS
.LBB27_129:
	s_or_b32 exec_lo, exec_lo, s6
	s_wait_loadcnt 0x0
	global_load_b64 v[2:3], v[0:1], off offset:16
	s_wait_loadcnt 0x0
	v_cmp_eq_u64_e32 vcc_lo, 0, v[2:3]
	s_cbranch_vccnz .LBB27_131
; %bb.130:
	global_load_b32 v0, v[0:1], off offset:24
	v_mov_b32_e32 v1, 0
	s_wait_loadcnt 0x0
	v_readfirstlane_b32 s6, v0
	global_wb scope:SCOPE_SYS
	s_wait_storecnt 0x0
	global_store_b64 v[2:3], v[0:1], off scope:SCOPE_SYS
	s_and_b32 m0, s6, 0xffffff
	s_sendmsg sendmsg(MSG_INTERRUPT)
.LBB27_131:
	s_wait_alu 0xfffe
	s_or_b32 exec_lo, exec_lo, s1
	s_branch .LBB27_135
.LBB27_132:                             ;   in Loop: Header=BB27_135 Depth=1
	s_wait_alu 0xfffe
	s_or_b32 exec_lo, exec_lo, s1
	s_delay_alu instid0(VALU_DEP_1)
	v_readfirstlane_b32 s1, v0
	s_cmp_eq_u32 s1, 0
	s_cbranch_scc1 .LBB27_134
; %bb.133:                              ;   in Loop: Header=BB27_135 Depth=1
	s_sleep 1
	s_cbranch_execnz .LBB27_135
	s_branch .LBB27_137
.LBB27_134:
	s_branch .LBB27_137
.LBB27_135:                             ; =>This Inner Loop Header: Depth=1
	v_mov_b32_e32 v0, 1
	s_and_saveexec_b32 s1, s0
	s_cbranch_execz .LBB27_132
; %bb.136:                              ;   in Loop: Header=BB27_135 Depth=1
	global_load_b32 v0, v[10:11], off offset:20 scope:SCOPE_SYS
	s_wait_loadcnt 0x0
	global_inv scope:SCOPE_SYS
	v_and_b32_e32 v0, 1, v0
	s_branch .LBB27_132
.LBB27_137:
	global_load_b64 v[0:1], v[12:13], off
	s_and_saveexec_b32 s6, s0
	s_cbranch_execz .LBB27_141
; %bb.138:
	v_mov_b32_e32 v10, 0
	s_clause 0x2
	global_load_b64 v[2:3], v10, s[2:3] offset:40
	global_load_b64 v[13:14], v10, s[2:3] offset:24 scope:SCOPE_SYS
	global_load_b64 v[6:7], v10, s[2:3]
	s_wait_loadcnt 0x2
	v_readfirstlane_b32 s10, v2
	v_readfirstlane_b32 s11, v3
	s_add_nc_u64 s[0:1], s[10:11], 1
	s_wait_alu 0xfffe
	s_add_nc_u64 s[4:5], s[0:1], s[4:5]
	s_wait_alu 0xfffe
	s_cmp_eq_u64 s[4:5], 0
	s_cselect_b32 s1, s1, s5
	s_cselect_b32 s0, s0, s4
	s_wait_alu 0xfffe
	v_mov_b32_e32 v12, s1
	s_and_b64 s[4:5], s[0:1], s[10:11]
	v_mov_b32_e32 v11, s0
	s_wait_alu 0xfffe
	s_mul_u64 s[4:5], s[4:5], 24
	s_wait_loadcnt 0x0
	s_wait_alu 0xfffe
	v_add_co_u32 v2, vcc_lo, v6, s4
	s_wait_alu 0xfffd
	v_add_co_ci_u32_e64 v3, null, s5, v7, vcc_lo
	global_store_b64 v[2:3], v[13:14], off
	global_wb scope:SCOPE_SYS
	s_wait_storecnt 0x0
	global_atomic_cmpswap_b64 v[8:9], v10, v[11:14], s[2:3] offset:24 th:TH_ATOMIC_RETURN scope:SCOPE_SYS
	s_wait_loadcnt 0x0
	v_cmp_ne_u64_e32 vcc_lo, v[8:9], v[13:14]
	s_and_b32 exec_lo, exec_lo, vcc_lo
	s_cbranch_execz .LBB27_141
; %bb.139:
	s_mov_b32 s4, 0
.LBB27_140:                             ; =>This Inner Loop Header: Depth=1
	v_dual_mov_b32 v6, s0 :: v_dual_mov_b32 v7, s1
	s_sleep 1
	global_store_b64 v[2:3], v[8:9], off
	global_wb scope:SCOPE_SYS
	s_wait_storecnt 0x0
	global_atomic_cmpswap_b64 v[6:7], v10, v[6:9], s[2:3] offset:24 th:TH_ATOMIC_RETURN scope:SCOPE_SYS
	s_wait_loadcnt 0x0
	v_cmp_eq_u64_e32 vcc_lo, v[6:7], v[8:9]
	v_dual_mov_b32 v9, v7 :: v_dual_mov_b32 v8, v6
	s_wait_alu 0xfffe
	s_or_b32 s4, vcc_lo, s4
	s_wait_alu 0xfffe
	s_and_not1_b32 exec_lo, exec_lo, s4
	s_cbranch_execnz .LBB27_140
.LBB27_141:
	s_wait_alu 0xfffe
	s_or_b32 exec_lo, exec_lo, s6
.LBB27_142:
	s_getpc_b64 s[4:5]
	s_wait_alu 0xfffe
	s_sext_i32_i16 s5, s5
	s_add_co_u32 s4, s4, .str.1@rel32@lo+12
	s_wait_alu 0xfffe
	s_add_co_ci_u32 s5, s5, .str.1@rel32@hi+24
	s_wait_alu 0xfffe
	s_cmp_lg_u64 s[4:5], 0
	s_cbranch_scc0 .LBB27_220
; %bb.143:
	s_getpc_b64 s[0:1]
	s_wait_alu 0xfffe
	s_sext_i32_i16 s1, s1
	s_add_co_u32 s0, s0, .str.1@rel32@lo+101
	s_wait_alu 0xfffe
	s_add_co_ci_u32 s1, s1, .str.1@rel32@hi+113
	s_wait_loadcnt 0x0
	v_dual_mov_b32 v11, 0 :: v_dual_and_b32 v32, 2, v0
	v_dual_mov_b32 v7, v1 :: v_dual_and_b32 v6, -3, v0
	v_dual_mov_b32 v12, 2 :: v_dual_mov_b32 v13, 1
	s_sub_co_i32 s6, s0, s4
	s_wait_alu 0xfffe
	s_ashr_i32 s7, s6, 31
	s_branch .LBB27_145
.LBB27_144:                             ;   in Loop: Header=BB27_145 Depth=1
	s_wait_alu 0xfffe
	s_or_b32 exec_lo, exec_lo, s14
	s_sub_nc_u64 s[6:7], s[6:7], s[10:11]
	s_add_nc_u64 s[4:5], s[4:5], s[10:11]
	s_wait_alu 0xfffe
	s_cmp_lg_u64 s[6:7], 0
	s_cbranch_scc0 .LBB27_221
.LBB27_145:                             ; =>This Loop Header: Depth=1
                                        ;     Child Loop BB27_148 Depth 2
                                        ;     Child Loop BB27_155 Depth 2
	;; [unrolled: 1-line block ×11, first 2 shown]
	s_wait_alu 0xfffe
	v_cmp_lt_u64_e64 s0, s[6:7], 56
	v_cmp_gt_u64_e64 s1, s[6:7], 7
	s_and_b32 s0, s0, exec_lo
	s_cselect_b32 s11, s7, 0
	s_cselect_b32 s10, s6, 56
	s_and_b32 vcc_lo, exec_lo, s1
	s_wait_alu 0xfffe
	s_cbranch_vccnz .LBB27_150
; %bb.146:                              ;   in Loop: Header=BB27_145 Depth=1
	v_mov_b32_e32 v8, 0
	v_mov_b32_e32 v9, 0
	s_cmp_eq_u64 s[6:7], 0
	s_cbranch_scc1 .LBB27_149
; %bb.147:                              ;   in Loop: Header=BB27_145 Depth=1
	s_mov_b64 s[0:1], 0
	s_mov_b64 s[12:13], 0
.LBB27_148:                             ;   Parent Loop BB27_145 Depth=1
                                        ; =>  This Inner Loop Header: Depth=2
	s_wait_alu 0xfffe
	s_add_nc_u64 s[14:15], s[4:5], s[12:13]
	s_add_nc_u64 s[12:13], s[12:13], 1
	global_load_u8 v2, v11, s[14:15]
	s_wait_alu 0xfffe
	s_cmp_lg_u32 s10, s12
	s_wait_loadcnt 0x0
	v_and_b32_e32 v10, 0xffff, v2
	s_delay_alu instid0(VALU_DEP_1) | instskip(SKIP_1) | instid1(VALU_DEP_1)
	v_lshlrev_b64_e32 v[2:3], s0, v[10:11]
	s_add_nc_u64 s[0:1], s[0:1], 8
	v_or_b32_e32 v8, v2, v8
	s_delay_alu instid0(VALU_DEP_2)
	v_or_b32_e32 v9, v3, v9
	s_cbranch_scc1 .LBB27_148
.LBB27_149:                             ;   in Loop: Header=BB27_145 Depth=1
	s_mov_b64 s[12:13], s[4:5]
	s_mov_b32 s16, 0
	s_cbranch_execz .LBB27_151
	s_branch .LBB27_152
.LBB27_150:                             ;   in Loop: Header=BB27_145 Depth=1
	s_add_nc_u64 s[12:13], s[4:5], 8
	s_mov_b32 s16, 0
.LBB27_151:                             ;   in Loop: Header=BB27_145 Depth=1
	global_load_b64 v[8:9], v11, s[4:5]
	s_add_co_i32 s16, s10, -8
.LBB27_152:                             ;   in Loop: Header=BB27_145 Depth=1
	s_wait_alu 0xfffe
	s_cmp_gt_u32 s16, 7
	s_cbranch_scc1 .LBB27_157
; %bb.153:                              ;   in Loop: Header=BB27_145 Depth=1
	v_mov_b32_e32 v14, 0
	v_mov_b32_e32 v15, 0
	s_cmp_eq_u32 s16, 0
	s_cbranch_scc1 .LBB27_156
; %bb.154:                              ;   in Loop: Header=BB27_145 Depth=1
	s_mov_b64 s[0:1], 0
	s_mov_b64 s[14:15], 0
.LBB27_155:                             ;   Parent Loop BB27_145 Depth=1
                                        ; =>  This Inner Loop Header: Depth=2
	s_wait_alu 0xfffe
	s_add_nc_u64 s[18:19], s[12:13], s[14:15]
	s_add_nc_u64 s[14:15], s[14:15], 1
	global_load_u8 v2, v11, s[18:19]
	s_wait_alu 0xfffe
	s_cmp_lg_u32 s16, s14
	s_wait_loadcnt 0x0
	v_and_b32_e32 v10, 0xffff, v2
	s_delay_alu instid0(VALU_DEP_1) | instskip(SKIP_1) | instid1(VALU_DEP_1)
	v_lshlrev_b64_e32 v[2:3], s0, v[10:11]
	s_add_nc_u64 s[0:1], s[0:1], 8
	v_or_b32_e32 v14, v2, v14
	s_delay_alu instid0(VALU_DEP_2)
	v_or_b32_e32 v15, v3, v15
	s_cbranch_scc1 .LBB27_155
.LBB27_156:                             ;   in Loop: Header=BB27_145 Depth=1
	s_mov_b64 s[0:1], s[12:13]
	s_mov_b32 s17, 0
	s_cbranch_execz .LBB27_158
	s_branch .LBB27_159
.LBB27_157:                             ;   in Loop: Header=BB27_145 Depth=1
	s_add_nc_u64 s[0:1], s[12:13], 8
                                        ; implicit-def: $vgpr14_vgpr15
	s_mov_b32 s17, 0
.LBB27_158:                             ;   in Loop: Header=BB27_145 Depth=1
	global_load_b64 v[14:15], v11, s[12:13]
	s_add_co_i32 s17, s16, -8
.LBB27_159:                             ;   in Loop: Header=BB27_145 Depth=1
	s_wait_alu 0xfffe
	s_cmp_gt_u32 s17, 7
	s_cbranch_scc1 .LBB27_164
; %bb.160:                              ;   in Loop: Header=BB27_145 Depth=1
	v_mov_b32_e32 v16, 0
	v_mov_b32_e32 v17, 0
	s_cmp_eq_u32 s17, 0
	s_cbranch_scc1 .LBB27_163
; %bb.161:                              ;   in Loop: Header=BB27_145 Depth=1
	s_mov_b64 s[12:13], 0
	s_mov_b64 s[14:15], 0
.LBB27_162:                             ;   Parent Loop BB27_145 Depth=1
                                        ; =>  This Inner Loop Header: Depth=2
	s_wait_alu 0xfffe
	s_add_nc_u64 s[18:19], s[0:1], s[14:15]
	s_add_nc_u64 s[14:15], s[14:15], 1
	global_load_u8 v2, v11, s[18:19]
	s_wait_alu 0xfffe
	s_cmp_lg_u32 s17, s14
	s_wait_loadcnt 0x0
	v_and_b32_e32 v10, 0xffff, v2
	s_delay_alu instid0(VALU_DEP_1) | instskip(SKIP_1) | instid1(VALU_DEP_1)
	v_lshlrev_b64_e32 v[2:3], s12, v[10:11]
	s_add_nc_u64 s[12:13], s[12:13], 8
	v_or_b32_e32 v16, v2, v16
	s_delay_alu instid0(VALU_DEP_2)
	v_or_b32_e32 v17, v3, v17
	s_cbranch_scc1 .LBB27_162
.LBB27_163:                             ;   in Loop: Header=BB27_145 Depth=1
	s_mov_b64 s[12:13], s[0:1]
	s_mov_b32 s16, 0
	s_cbranch_execz .LBB27_165
	s_branch .LBB27_166
.LBB27_164:                             ;   in Loop: Header=BB27_145 Depth=1
	s_add_nc_u64 s[12:13], s[0:1], 8
	s_mov_b32 s16, 0
.LBB27_165:                             ;   in Loop: Header=BB27_145 Depth=1
	global_load_b64 v[16:17], v11, s[0:1]
	s_add_co_i32 s16, s17, -8
.LBB27_166:                             ;   in Loop: Header=BB27_145 Depth=1
	s_wait_alu 0xfffe
	s_cmp_gt_u32 s16, 7
	s_cbranch_scc1 .LBB27_171
; %bb.167:                              ;   in Loop: Header=BB27_145 Depth=1
	v_mov_b32_e32 v18, 0
	v_mov_b32_e32 v19, 0
	s_cmp_eq_u32 s16, 0
	s_cbranch_scc1 .LBB27_170
; %bb.168:                              ;   in Loop: Header=BB27_145 Depth=1
	s_mov_b64 s[0:1], 0
	s_mov_b64 s[14:15], 0
.LBB27_169:                             ;   Parent Loop BB27_145 Depth=1
                                        ; =>  This Inner Loop Header: Depth=2
	s_wait_alu 0xfffe
	s_add_nc_u64 s[18:19], s[12:13], s[14:15]
	s_add_nc_u64 s[14:15], s[14:15], 1
	global_load_u8 v2, v11, s[18:19]
	s_wait_alu 0xfffe
	s_cmp_lg_u32 s16, s14
	s_wait_loadcnt 0x0
	v_and_b32_e32 v10, 0xffff, v2
	s_delay_alu instid0(VALU_DEP_1) | instskip(SKIP_1) | instid1(VALU_DEP_1)
	v_lshlrev_b64_e32 v[2:3], s0, v[10:11]
	s_add_nc_u64 s[0:1], s[0:1], 8
	v_or_b32_e32 v18, v2, v18
	s_delay_alu instid0(VALU_DEP_2)
	v_or_b32_e32 v19, v3, v19
	s_cbranch_scc1 .LBB27_169
.LBB27_170:                             ;   in Loop: Header=BB27_145 Depth=1
	s_mov_b64 s[0:1], s[12:13]
	s_mov_b32 s17, 0
	s_cbranch_execz .LBB27_172
	s_branch .LBB27_173
.LBB27_171:                             ;   in Loop: Header=BB27_145 Depth=1
	s_add_nc_u64 s[0:1], s[12:13], 8
                                        ; implicit-def: $vgpr18_vgpr19
	s_mov_b32 s17, 0
.LBB27_172:                             ;   in Loop: Header=BB27_145 Depth=1
	global_load_b64 v[18:19], v11, s[12:13]
	s_add_co_i32 s17, s16, -8
.LBB27_173:                             ;   in Loop: Header=BB27_145 Depth=1
	s_wait_alu 0xfffe
	s_cmp_gt_u32 s17, 7
	s_cbranch_scc1 .LBB27_178
; %bb.174:                              ;   in Loop: Header=BB27_145 Depth=1
	v_mov_b32_e32 v20, 0
	v_mov_b32_e32 v21, 0
	s_cmp_eq_u32 s17, 0
	s_cbranch_scc1 .LBB27_177
; %bb.175:                              ;   in Loop: Header=BB27_145 Depth=1
	s_mov_b64 s[12:13], 0
	s_mov_b64 s[14:15], 0
.LBB27_176:                             ;   Parent Loop BB27_145 Depth=1
                                        ; =>  This Inner Loop Header: Depth=2
	s_wait_alu 0xfffe
	s_add_nc_u64 s[18:19], s[0:1], s[14:15]
	s_add_nc_u64 s[14:15], s[14:15], 1
	global_load_u8 v2, v11, s[18:19]
	s_wait_alu 0xfffe
	s_cmp_lg_u32 s17, s14
	s_wait_loadcnt 0x0
	v_and_b32_e32 v10, 0xffff, v2
	s_delay_alu instid0(VALU_DEP_1) | instskip(SKIP_1) | instid1(VALU_DEP_1)
	v_lshlrev_b64_e32 v[2:3], s12, v[10:11]
	s_add_nc_u64 s[12:13], s[12:13], 8
	v_or_b32_e32 v20, v2, v20
	s_delay_alu instid0(VALU_DEP_2)
	v_or_b32_e32 v21, v3, v21
	s_cbranch_scc1 .LBB27_176
.LBB27_177:                             ;   in Loop: Header=BB27_145 Depth=1
	s_mov_b64 s[12:13], s[0:1]
	s_mov_b32 s16, 0
	s_cbranch_execz .LBB27_179
	s_branch .LBB27_180
.LBB27_178:                             ;   in Loop: Header=BB27_145 Depth=1
	s_add_nc_u64 s[12:13], s[0:1], 8
	s_mov_b32 s16, 0
.LBB27_179:                             ;   in Loop: Header=BB27_145 Depth=1
	global_load_b64 v[20:21], v11, s[0:1]
	s_add_co_i32 s16, s17, -8
.LBB27_180:                             ;   in Loop: Header=BB27_145 Depth=1
	s_wait_alu 0xfffe
	s_cmp_gt_u32 s16, 7
	s_cbranch_scc1 .LBB27_185
; %bb.181:                              ;   in Loop: Header=BB27_145 Depth=1
	v_mov_b32_e32 v22, 0
	v_mov_b32_e32 v23, 0
	s_cmp_eq_u32 s16, 0
	s_cbranch_scc1 .LBB27_184
; %bb.182:                              ;   in Loop: Header=BB27_145 Depth=1
	s_mov_b64 s[0:1], 0
	s_mov_b64 s[14:15], 0
.LBB27_183:                             ;   Parent Loop BB27_145 Depth=1
                                        ; =>  This Inner Loop Header: Depth=2
	s_wait_alu 0xfffe
	s_add_nc_u64 s[18:19], s[12:13], s[14:15]
	s_add_nc_u64 s[14:15], s[14:15], 1
	global_load_u8 v2, v11, s[18:19]
	s_wait_alu 0xfffe
	s_cmp_lg_u32 s16, s14
	s_wait_loadcnt 0x0
	v_and_b32_e32 v10, 0xffff, v2
	s_delay_alu instid0(VALU_DEP_1) | instskip(SKIP_1) | instid1(VALU_DEP_1)
	v_lshlrev_b64_e32 v[2:3], s0, v[10:11]
	s_add_nc_u64 s[0:1], s[0:1], 8
	v_or_b32_e32 v22, v2, v22
	s_delay_alu instid0(VALU_DEP_2)
	v_or_b32_e32 v23, v3, v23
	s_cbranch_scc1 .LBB27_183
.LBB27_184:                             ;   in Loop: Header=BB27_145 Depth=1
	s_mov_b64 s[0:1], s[12:13]
	s_mov_b32 s17, 0
	s_cbranch_execz .LBB27_186
	s_branch .LBB27_187
.LBB27_185:                             ;   in Loop: Header=BB27_145 Depth=1
	s_add_nc_u64 s[0:1], s[12:13], 8
                                        ; implicit-def: $vgpr22_vgpr23
	s_mov_b32 s17, 0
.LBB27_186:                             ;   in Loop: Header=BB27_145 Depth=1
	global_load_b64 v[22:23], v11, s[12:13]
	s_add_co_i32 s17, s16, -8
.LBB27_187:                             ;   in Loop: Header=BB27_145 Depth=1
	s_wait_alu 0xfffe
	s_cmp_gt_u32 s17, 7
	s_cbranch_scc1 .LBB27_192
; %bb.188:                              ;   in Loop: Header=BB27_145 Depth=1
	v_mov_b32_e32 v24, 0
	v_mov_b32_e32 v25, 0
	s_cmp_eq_u32 s17, 0
	s_cbranch_scc1 .LBB27_191
; %bb.189:                              ;   in Loop: Header=BB27_145 Depth=1
	s_mov_b64 s[12:13], 0
	s_mov_b64 s[14:15], s[0:1]
.LBB27_190:                             ;   Parent Loop BB27_145 Depth=1
                                        ; =>  This Inner Loop Header: Depth=2
	global_load_u8 v2, v11, s[14:15]
	s_add_co_i32 s17, s17, -1
	s_wait_alu 0xfffe
	s_add_nc_u64 s[14:15], s[14:15], 1
	s_cmp_lg_u32 s17, 0
	s_wait_loadcnt 0x0
	v_and_b32_e32 v10, 0xffff, v2
	s_delay_alu instid0(VALU_DEP_1) | instskip(SKIP_1) | instid1(VALU_DEP_1)
	v_lshlrev_b64_e32 v[2:3], s12, v[10:11]
	s_add_nc_u64 s[12:13], s[12:13], 8
	v_or_b32_e32 v24, v2, v24
	s_delay_alu instid0(VALU_DEP_2)
	v_or_b32_e32 v25, v3, v25
	s_cbranch_scc1 .LBB27_190
.LBB27_191:                             ;   in Loop: Header=BB27_145 Depth=1
	s_cbranch_execz .LBB27_193
	s_branch .LBB27_194
.LBB27_192:                             ;   in Loop: Header=BB27_145 Depth=1
.LBB27_193:                             ;   in Loop: Header=BB27_145 Depth=1
	global_load_b64 v[24:25], v11, s[0:1]
.LBB27_194:                             ;   in Loop: Header=BB27_145 Depth=1
	v_readfirstlane_b32 s0, v37
	v_mov_b32_e32 v2, 0
	v_mov_b32_e32 v3, 0
	s_wait_alu 0xf1ff
	s_delay_alu instid0(VALU_DEP_3)
	v_cmp_eq_u32_e64 s0, s0, v37
	s_and_saveexec_b32 s1, s0
	s_cbranch_execz .LBB27_200
; %bb.195:                              ;   in Loop: Header=BB27_145 Depth=1
	global_load_b64 v[28:29], v11, s[2:3] offset:24 scope:SCOPE_SYS
	s_wait_loadcnt 0x0
	global_inv scope:SCOPE_SYS
	s_clause 0x1
	global_load_b64 v[2:3], v11, s[2:3] offset:40
	global_load_b64 v[26:27], v11, s[2:3]
	s_mov_b32 s12, exec_lo
	s_wait_loadcnt 0x1
	v_and_b32_e32 v3, v3, v29
	v_and_b32_e32 v2, v2, v28
	s_delay_alu instid0(VALU_DEP_2) | instskip(NEXT) | instid1(VALU_DEP_2)
	v_mul_lo_u32 v3, 24, v3
	v_mul_lo_u32 v10, 0, v2
	v_mul_hi_u32 v30, 24, v2
	v_mul_lo_u32 v2, 24, v2
	s_delay_alu instid0(VALU_DEP_3) | instskip(SKIP_1) | instid1(VALU_DEP_2)
	v_add_nc_u32_e32 v3, v3, v10
	s_wait_loadcnt 0x0
	v_add_co_u32 v2, vcc_lo, v26, v2
	s_delay_alu instid0(VALU_DEP_2) | instskip(SKIP_1) | instid1(VALU_DEP_1)
	v_add_nc_u32_e32 v3, v3, v30
	s_wait_alu 0xfffd
	v_add_co_ci_u32_e64 v3, null, v27, v3, vcc_lo
	global_load_b64 v[26:27], v[2:3], off scope:SCOPE_SYS
	s_wait_loadcnt 0x0
	global_atomic_cmpswap_b64 v[2:3], v11, v[26:29], s[2:3] offset:24 th:TH_ATOMIC_RETURN scope:SCOPE_SYS
	s_wait_loadcnt 0x0
	global_inv scope:SCOPE_SYS
	v_cmpx_ne_u64_e64 v[2:3], v[28:29]
	s_cbranch_execz .LBB27_199
; %bb.196:                              ;   in Loop: Header=BB27_145 Depth=1
	s_mov_b32 s13, 0
.LBB27_197:                             ;   Parent Loop BB27_145 Depth=1
                                        ; =>  This Inner Loop Header: Depth=2
	s_sleep 1
	s_clause 0x1
	global_load_b64 v[26:27], v11, s[2:3] offset:40
	global_load_b64 v[30:31], v11, s[2:3]
	v_dual_mov_b32 v29, v3 :: v_dual_mov_b32 v28, v2
	s_wait_loadcnt 0x1
	s_delay_alu instid0(VALU_DEP_1) | instskip(NEXT) | instid1(VALU_DEP_2)
	v_and_b32_e32 v2, v26, v28
	v_and_b32_e32 v10, v27, v29
	s_wait_loadcnt 0x0
	s_delay_alu instid0(VALU_DEP_2) | instskip(NEXT) | instid1(VALU_DEP_1)
	v_mad_co_u64_u32 v[2:3], null, v2, 24, v[30:31]
	v_mad_co_u64_u32 v[26:27], null, v10, 24, v[3:4]
	s_delay_alu instid0(VALU_DEP_1)
	v_mov_b32_e32 v3, v26
	global_load_b64 v[26:27], v[2:3], off scope:SCOPE_SYS
	s_wait_loadcnt 0x0
	global_atomic_cmpswap_b64 v[2:3], v11, v[26:29], s[2:3] offset:24 th:TH_ATOMIC_RETURN scope:SCOPE_SYS
	s_wait_loadcnt 0x0
	global_inv scope:SCOPE_SYS
	v_cmp_eq_u64_e32 vcc_lo, v[2:3], v[28:29]
	s_wait_alu 0xfffe
	s_or_b32 s13, vcc_lo, s13
	s_wait_alu 0xfffe
	s_and_not1_b32 exec_lo, exec_lo, s13
	s_cbranch_execnz .LBB27_197
; %bb.198:                              ;   in Loop: Header=BB27_145 Depth=1
	s_or_b32 exec_lo, exec_lo, s13
.LBB27_199:                             ;   in Loop: Header=BB27_145 Depth=1
	s_wait_alu 0xfffe
	s_or_b32 exec_lo, exec_lo, s12
.LBB27_200:                             ;   in Loop: Header=BB27_145 Depth=1
	s_wait_alu 0xfffe
	s_or_b32 exec_lo, exec_lo, s1
	s_clause 0x1
	global_load_b64 v[30:31], v11, s[2:3] offset:40
	global_load_b128 v[26:29], v11, s[2:3]
	v_readfirstlane_b32 s13, v3
	v_readfirstlane_b32 s12, v2
	s_mov_b32 s1, exec_lo
	s_wait_loadcnt 0x1
	s_wait_alu 0xf1ff
	v_and_b32_e32 v31, s13, v31
	v_and_b32_e32 v30, s12, v30
	s_delay_alu instid0(VALU_DEP_2) | instskip(NEXT) | instid1(VALU_DEP_2)
	v_mul_lo_u32 v2, 24, v31
	v_mul_lo_u32 v3, 0, v30
	v_mul_hi_u32 v10, 24, v30
	v_mul_lo_u32 v33, 24, v30
	s_delay_alu instid0(VALU_DEP_3) | instskip(NEXT) | instid1(VALU_DEP_1)
	v_add_nc_u32_e32 v2, v2, v3
	v_add_nc_u32_e32 v3, v2, v10
	s_wait_loadcnt 0x0
	s_delay_alu instid0(VALU_DEP_3) | instskip(SKIP_1) | instid1(VALU_DEP_2)
	v_add_co_u32 v2, vcc_lo, v26, v33
	s_wait_alu 0xfffd
	v_add_co_ci_u32_e64 v3, null, v27, v3, vcc_lo
	s_and_saveexec_b32 s14, s0
	s_cbranch_execz .LBB27_202
; %bb.201:                              ;   in Loop: Header=BB27_145 Depth=1
	s_wait_alu 0xfffe
	v_mov_b32_e32 v10, s1
	global_store_b128 v[2:3], v[10:13], off offset:8
.LBB27_202:                             ;   in Loop: Header=BB27_145 Depth=1
	s_wait_alu 0xfffe
	s_or_b32 exec_lo, exec_lo, s14
	v_cmp_lt_u64_e64 vcc_lo, s[6:7], 57
	v_lshlrev_b64_e32 v[30:31], 12, v[30:31]
	v_and_b32_e32 v6, 0xffffff1f, v6
	s_lshl_b32 s1, s10, 2
	s_wait_alu 0xfffe
	s_add_co_i32 s1, s1, 28
	s_wait_alu 0xfffd
	v_cndmask_b32_e32 v10, 0, v32, vcc_lo
	v_add_co_u32 v28, vcc_lo, v28, v30
	s_wait_alu 0xfffd
	v_add_co_ci_u32_e64 v29, null, v29, v31, vcc_lo
	s_delay_alu instid0(VALU_DEP_3) | instskip(NEXT) | instid1(VALU_DEP_3)
	v_or_b32_e32 v6, v6, v10
	v_readfirstlane_b32 s14, v28
	s_delay_alu instid0(VALU_DEP_3) | instskip(SKIP_1) | instid1(VALU_DEP_3)
	v_readfirstlane_b32 s15, v29
	s_wait_alu 0xfffe
	v_and_or_b32 v6, 0x1e0, s1, v6
	s_clause 0x3
	global_store_b128 v36, v[6:9], s[14:15]
	global_store_b128 v36, v[14:17], s[14:15] offset:16
	global_store_b128 v36, v[18:21], s[14:15] offset:32
	;; [unrolled: 1-line block ×3, first 2 shown]
	s_and_saveexec_b32 s1, s0
	s_cbranch_execz .LBB27_210
; %bb.203:                              ;   in Loop: Header=BB27_145 Depth=1
	s_clause 0x1
	global_load_b64 v[18:19], v11, s[2:3] offset:32 scope:SCOPE_SYS
	global_load_b64 v[6:7], v11, s[2:3] offset:40
	s_mov_b32 s14, exec_lo
	v_dual_mov_b32 v16, s12 :: v_dual_mov_b32 v17, s13
	s_wait_loadcnt 0x0
	v_and_b32_e32 v6, s12, v6
	v_and_b32_e32 v7, s13, v7
	s_delay_alu instid0(VALU_DEP_2) | instskip(NEXT) | instid1(VALU_DEP_2)
	v_mul_lo_u32 v8, 0, v6
	v_mul_lo_u32 v7, 24, v7
	v_mul_hi_u32 v9, 24, v6
	v_mul_lo_u32 v6, 24, v6
	s_delay_alu instid0(VALU_DEP_3) | instskip(NEXT) | instid1(VALU_DEP_2)
	v_add_nc_u32_e32 v7, v7, v8
	v_add_co_u32 v14, vcc_lo, v26, v6
	s_delay_alu instid0(VALU_DEP_2) | instskip(SKIP_1) | instid1(VALU_DEP_1)
	v_add_nc_u32_e32 v7, v7, v9
	s_wait_alu 0xfffd
	v_add_co_ci_u32_e64 v15, null, v27, v7, vcc_lo
	global_store_b64 v[14:15], v[18:19], off
	global_wb scope:SCOPE_SYS
	s_wait_storecnt 0x0
	global_atomic_cmpswap_b64 v[8:9], v11, v[16:19], s[2:3] offset:32 th:TH_ATOMIC_RETURN scope:SCOPE_SYS
	s_wait_loadcnt 0x0
	v_cmpx_ne_u64_e64 v[8:9], v[18:19]
	s_cbranch_execz .LBB27_206
; %bb.204:                              ;   in Loop: Header=BB27_145 Depth=1
	s_mov_b32 s15, 0
.LBB27_205:                             ;   Parent Loop BB27_145 Depth=1
                                        ; =>  This Inner Loop Header: Depth=2
	v_dual_mov_b32 v6, s12 :: v_dual_mov_b32 v7, s13
	s_sleep 1
	global_store_b64 v[14:15], v[8:9], off
	global_wb scope:SCOPE_SYS
	s_wait_storecnt 0x0
	global_atomic_cmpswap_b64 v[6:7], v11, v[6:9], s[2:3] offset:32 th:TH_ATOMIC_RETURN scope:SCOPE_SYS
	s_wait_loadcnt 0x0
	v_cmp_eq_u64_e32 vcc_lo, v[6:7], v[8:9]
	v_dual_mov_b32 v9, v7 :: v_dual_mov_b32 v8, v6
	s_wait_alu 0xfffe
	s_or_b32 s15, vcc_lo, s15
	s_wait_alu 0xfffe
	s_and_not1_b32 exec_lo, exec_lo, s15
	s_cbranch_execnz .LBB27_205
.LBB27_206:                             ;   in Loop: Header=BB27_145 Depth=1
	s_wait_alu 0xfffe
	s_or_b32 exec_lo, exec_lo, s14
	global_load_b64 v[6:7], v11, s[2:3] offset:16
	s_mov_b32 s15, exec_lo
	s_mov_b32 s14, exec_lo
	s_wait_alu 0xfffe
	v_mbcnt_lo_u32_b32 v8, s15, 0
	s_delay_alu instid0(VALU_DEP_1)
	v_cmpx_eq_u32_e32 0, v8
	s_cbranch_execz .LBB27_208
; %bb.207:                              ;   in Loop: Header=BB27_145 Depth=1
	s_bcnt1_i32_b32 s15, s15
	s_wait_alu 0xfffe
	v_mov_b32_e32 v10, s15
	global_wb scope:SCOPE_SYS
	s_wait_loadcnt 0x0
	s_wait_storecnt 0x0
	global_atomic_add_u64 v[6:7], v[10:11], off offset:8 scope:SCOPE_SYS
.LBB27_208:                             ;   in Loop: Header=BB27_145 Depth=1
	s_or_b32 exec_lo, exec_lo, s14
	s_wait_loadcnt 0x0
	global_load_b64 v[8:9], v[6:7], off offset:16
	s_wait_loadcnt 0x0
	v_cmp_eq_u64_e32 vcc_lo, 0, v[8:9]
	s_cbranch_vccnz .LBB27_210
; %bb.209:                              ;   in Loop: Header=BB27_145 Depth=1
	global_load_b32 v10, v[6:7], off offset:24
	s_wait_loadcnt 0x0
	v_readfirstlane_b32 s14, v10
	global_wb scope:SCOPE_SYS
	s_wait_storecnt 0x0
	global_store_b64 v[8:9], v[10:11], off scope:SCOPE_SYS
	s_and_b32 m0, s14, 0xffffff
	s_sendmsg sendmsg(MSG_INTERRUPT)
.LBB27_210:                             ;   in Loop: Header=BB27_145 Depth=1
	s_wait_alu 0xfffe
	s_or_b32 exec_lo, exec_lo, s1
	v_add_co_u32 v6, vcc_lo, v28, v36
	s_wait_alu 0xfffd
	v_add_co_ci_u32_e64 v7, null, 0, v29, vcc_lo
	s_branch .LBB27_214
.LBB27_211:                             ;   in Loop: Header=BB27_214 Depth=2
	s_wait_alu 0xfffe
	s_or_b32 exec_lo, exec_lo, s1
	s_delay_alu instid0(VALU_DEP_1)
	v_readfirstlane_b32 s1, v8
	s_cmp_eq_u32 s1, 0
	s_cbranch_scc1 .LBB27_213
; %bb.212:                              ;   in Loop: Header=BB27_214 Depth=2
	s_sleep 1
	s_cbranch_execnz .LBB27_214
	s_branch .LBB27_216
.LBB27_213:                             ;   in Loop: Header=BB27_145 Depth=1
	s_branch .LBB27_216
.LBB27_214:                             ;   Parent Loop BB27_145 Depth=1
                                        ; =>  This Inner Loop Header: Depth=2
	v_mov_b32_e32 v8, 1
	s_and_saveexec_b32 s1, s0
	s_cbranch_execz .LBB27_211
; %bb.215:                              ;   in Loop: Header=BB27_214 Depth=2
	global_load_b32 v8, v[2:3], off offset:20 scope:SCOPE_SYS
	s_wait_loadcnt 0x0
	global_inv scope:SCOPE_SYS
	v_and_b32_e32 v8, 1, v8
	s_branch .LBB27_211
.LBB27_216:                             ;   in Loop: Header=BB27_145 Depth=1
	global_load_b64 v[6:7], v[6:7], off
	s_and_saveexec_b32 s14, s0
	s_cbranch_execz .LBB27_144
; %bb.217:                              ;   in Loop: Header=BB27_145 Depth=1
	s_clause 0x2
	global_load_b64 v[2:3], v11, s[2:3] offset:40
	global_load_b64 v[18:19], v11, s[2:3] offset:24 scope:SCOPE_SYS
	global_load_b64 v[8:9], v11, s[2:3]
	s_wait_loadcnt 0x2
	v_readfirstlane_b32 s16, v2
	v_readfirstlane_b32 s17, v3
	s_add_nc_u64 s[0:1], s[16:17], 1
	s_wait_alu 0xfffe
	s_add_nc_u64 s[12:13], s[0:1], s[12:13]
	s_wait_alu 0xfffe
	s_cmp_eq_u64 s[12:13], 0
	s_cselect_b32 s1, s1, s13
	s_cselect_b32 s0, s0, s12
	s_wait_alu 0xfffe
	v_dual_mov_b32 v17, s1 :: v_dual_mov_b32 v16, s0
	s_and_b64 s[12:13], s[0:1], s[16:17]
	s_wait_alu 0xfffe
	s_mul_u64 s[12:13], s[12:13], 24
	s_wait_loadcnt 0x0
	s_wait_alu 0xfffe
	v_add_co_u32 v2, vcc_lo, v8, s12
	s_wait_alu 0xfffd
	v_add_co_ci_u32_e64 v3, null, s13, v9, vcc_lo
	global_store_b64 v[2:3], v[18:19], off
	global_wb scope:SCOPE_SYS
	s_wait_storecnt 0x0
	global_atomic_cmpswap_b64 v[16:17], v11, v[16:19], s[2:3] offset:24 th:TH_ATOMIC_RETURN scope:SCOPE_SYS
	s_wait_loadcnt 0x0
	v_cmp_ne_u64_e32 vcc_lo, v[16:17], v[18:19]
	s_and_b32 exec_lo, exec_lo, vcc_lo
	s_cbranch_execz .LBB27_144
; %bb.218:                              ;   in Loop: Header=BB27_145 Depth=1
	s_mov_b32 s12, 0
.LBB27_219:                             ;   Parent Loop BB27_145 Depth=1
                                        ; =>  This Inner Loop Header: Depth=2
	v_dual_mov_b32 v14, s0 :: v_dual_mov_b32 v15, s1
	s_sleep 1
	global_store_b64 v[2:3], v[16:17], off
	global_wb scope:SCOPE_SYS
	s_wait_storecnt 0x0
	global_atomic_cmpswap_b64 v[8:9], v11, v[14:17], s[2:3] offset:24 th:TH_ATOMIC_RETURN scope:SCOPE_SYS
	s_wait_loadcnt 0x0
	v_cmp_eq_u64_e32 vcc_lo, v[8:9], v[16:17]
	v_dual_mov_b32 v17, v9 :: v_dual_mov_b32 v16, v8
	s_wait_alu 0xfffe
	s_or_b32 s12, vcc_lo, s12
	s_wait_alu 0xfffe
	s_and_not1_b32 exec_lo, exec_lo, s12
	s_cbranch_execnz .LBB27_219
	s_branch .LBB27_144
.LBB27_220:
                                        ; implicit-def: $vgpr6_vgpr7
	s_cbranch_execnz .LBB27_222
	s_branch .LBB27_249
.LBB27_221:
	s_branch .LBB27_249
.LBB27_222:
	v_readfirstlane_b32 s0, v37
	v_mov_b32_e32 v10, 0
	v_mov_b32_e32 v11, 0
	s_wait_alu 0xf1ff
	s_delay_alu instid0(VALU_DEP_3)
	v_cmp_eq_u32_e64 s0, s0, v37
	s_and_saveexec_b32 s1, s0
	s_cbranch_execz .LBB27_228
; %bb.223:
	v_mov_b32_e32 v2, 0
	s_mov_b32 s4, exec_lo
	global_load_b64 v[8:9], v2, s[2:3] offset:24 scope:SCOPE_SYS
	s_wait_loadcnt 0x0
	global_inv scope:SCOPE_SYS
	s_clause 0x1
	global_load_b64 v[6:7], v2, s[2:3] offset:40
	global_load_b64 v[10:11], v2, s[2:3]
	s_wait_loadcnt 0x1
	v_and_b32_e32 v3, v7, v9
	v_and_b32_e32 v6, v6, v8
	s_delay_alu instid0(VALU_DEP_2) | instskip(NEXT) | instid1(VALU_DEP_2)
	v_mul_lo_u32 v3, 24, v3
	v_mul_lo_u32 v7, 0, v6
	v_mul_hi_u32 v12, 24, v6
	v_mul_lo_u32 v6, 24, v6
	s_delay_alu instid0(VALU_DEP_3) | instskip(SKIP_1) | instid1(VALU_DEP_2)
	v_add_nc_u32_e32 v3, v3, v7
	s_wait_loadcnt 0x0
	v_add_co_u32 v6, vcc_lo, v10, v6
	s_delay_alu instid0(VALU_DEP_2) | instskip(SKIP_1) | instid1(VALU_DEP_1)
	v_add_nc_u32_e32 v3, v3, v12
	s_wait_alu 0xfffd
	v_add_co_ci_u32_e64 v7, null, v11, v3, vcc_lo
	global_load_b64 v[6:7], v[6:7], off scope:SCOPE_SYS
	s_wait_loadcnt 0x0
	global_atomic_cmpswap_b64 v[10:11], v2, v[6:9], s[2:3] offset:24 th:TH_ATOMIC_RETURN scope:SCOPE_SYS
	s_wait_loadcnt 0x0
	global_inv scope:SCOPE_SYS
	v_cmpx_ne_u64_e64 v[10:11], v[8:9]
	s_cbranch_execz .LBB27_227
; %bb.224:
	s_mov_b32 s5, 0
.LBB27_225:                             ; =>This Inner Loop Header: Depth=1
	s_sleep 1
	s_clause 0x1
	global_load_b64 v[6:7], v2, s[2:3] offset:40
	global_load_b64 v[12:13], v2, s[2:3]
	v_dual_mov_b32 v8, v10 :: v_dual_mov_b32 v9, v11
	s_wait_loadcnt 0x1
	s_delay_alu instid0(VALU_DEP_1) | instskip(NEXT) | instid1(VALU_DEP_2)
	v_and_b32_e32 v3, v6, v8
	v_and_b32_e32 v6, v7, v9
	s_wait_loadcnt 0x0
	s_delay_alu instid0(VALU_DEP_2) | instskip(NEXT) | instid1(VALU_DEP_1)
	v_mad_co_u64_u32 v[10:11], null, v3, 24, v[12:13]
	v_mov_b32_e32 v3, v11
	s_delay_alu instid0(VALU_DEP_1) | instskip(NEXT) | instid1(VALU_DEP_1)
	v_mad_co_u64_u32 v[6:7], null, v6, 24, v[3:4]
	v_mov_b32_e32 v11, v6
	global_load_b64 v[6:7], v[10:11], off scope:SCOPE_SYS
	s_wait_loadcnt 0x0
	global_atomic_cmpswap_b64 v[10:11], v2, v[6:9], s[2:3] offset:24 th:TH_ATOMIC_RETURN scope:SCOPE_SYS
	s_wait_loadcnt 0x0
	global_inv scope:SCOPE_SYS
	v_cmp_eq_u64_e32 vcc_lo, v[10:11], v[8:9]
	s_wait_alu 0xfffe
	s_or_b32 s5, vcc_lo, s5
	s_wait_alu 0xfffe
	s_and_not1_b32 exec_lo, exec_lo, s5
	s_cbranch_execnz .LBB27_225
; %bb.226:
	s_or_b32 exec_lo, exec_lo, s5
.LBB27_227:
	s_wait_alu 0xfffe
	s_or_b32 exec_lo, exec_lo, s4
.LBB27_228:
	s_wait_alu 0xfffe
	s_or_b32 exec_lo, exec_lo, s1
	v_readfirstlane_b32 s5, v11
	v_mov_b32_e32 v2, 0
	v_readfirstlane_b32 s4, v10
	s_mov_b32 s1, exec_lo
	global_load_b64 v[12:13], v2, s[2:3] offset:40
	s_wait_loadcnt 0x1
	global_load_b128 v[6:9], v2, s[2:3]
	s_wait_loadcnt 0x1
	s_wait_alu 0xf1ff
	v_and_b32_e32 v13, s5, v13
	v_and_b32_e32 v12, s4, v12
	s_delay_alu instid0(VALU_DEP_2) | instskip(NEXT) | instid1(VALU_DEP_2)
	v_mul_lo_u32 v3, 24, v13
	v_mul_lo_u32 v10, 0, v12
	v_mul_hi_u32 v11, 24, v12
	v_mul_lo_u32 v14, 24, v12
	s_delay_alu instid0(VALU_DEP_3) | instskip(SKIP_1) | instid1(VALU_DEP_2)
	v_add_nc_u32_e32 v3, v3, v10
	s_wait_loadcnt 0x0
	v_add_co_u32 v10, vcc_lo, v6, v14
	s_delay_alu instid0(VALU_DEP_2) | instskip(SKIP_1) | instid1(VALU_DEP_1)
	v_add_nc_u32_e32 v3, v3, v11
	s_wait_alu 0xfffd
	v_add_co_ci_u32_e64 v11, null, v7, v3, vcc_lo
	s_and_saveexec_b32 s6, s0
	s_cbranch_execz .LBB27_230
; %bb.229:
	s_wait_alu 0xfffe
	v_dual_mov_b32 v14, s1 :: v_dual_mov_b32 v15, v2
	v_dual_mov_b32 v16, 2 :: v_dual_mov_b32 v17, 1
	global_store_b128 v[10:11], v[14:17], off offset:8
.LBB27_230:
	s_wait_alu 0xfffe
	s_or_b32 exec_lo, exec_lo, s6
	v_lshlrev_b64_e32 v[12:13], 12, v[12:13]
	s_mov_b32 s12, 0
	v_and_or_b32 v0, 0xffffff1f, v0, 32
	s_wait_alu 0xfffe
	s_mov_b32 s13, s12
	s_mov_b32 s14, s12
	s_mov_b32 s15, s12
	v_add_co_u32 v8, vcc_lo, v8, v12
	s_wait_alu 0xfffd
	v_add_co_ci_u32_e64 v9, null, v9, v13, vcc_lo
	v_dual_mov_b32 v3, v2 :: v_dual_mov_b32 v12, s12
	s_delay_alu instid0(VALU_DEP_3) | instskip(SKIP_1) | instid1(VALU_DEP_4)
	v_readfirstlane_b32 s6, v8
	v_add_co_u32 v8, vcc_lo, v8, v36
	v_readfirstlane_b32 s7, v9
	s_wait_alu 0xfffd
	v_add_co_ci_u32_e64 v9, null, 0, v9, vcc_lo
	s_wait_alu 0xfffe
	v_dual_mov_b32 v13, s13 :: v_dual_mov_b32 v14, s14
	v_mov_b32_e32 v15, s15
	s_clause 0x3
	global_store_b128 v36, v[0:3], s[6:7]
	global_store_b128 v36, v[12:15], s[6:7] offset:16
	global_store_b128 v36, v[12:15], s[6:7] offset:32
	;; [unrolled: 1-line block ×3, first 2 shown]
	s_and_saveexec_b32 s1, s0
	s_cbranch_execz .LBB27_238
; %bb.231:
	v_mov_b32_e32 v12, 0
	s_mov_b32 s6, exec_lo
	s_clause 0x1
	global_load_b64 v[15:16], v12, s[2:3] offset:32 scope:SCOPE_SYS
	global_load_b64 v[0:1], v12, s[2:3] offset:40
	v_dual_mov_b32 v13, s4 :: v_dual_mov_b32 v14, s5
	s_wait_loadcnt 0x0
	v_and_b32_e32 v1, s5, v1
	v_and_b32_e32 v0, s4, v0
	s_delay_alu instid0(VALU_DEP_2) | instskip(NEXT) | instid1(VALU_DEP_2)
	v_mul_lo_u32 v1, 24, v1
	v_mul_lo_u32 v2, 0, v0
	v_mul_hi_u32 v3, 24, v0
	v_mul_lo_u32 v0, 24, v0
	s_delay_alu instid0(VALU_DEP_3) | instskip(NEXT) | instid1(VALU_DEP_2)
	v_add_nc_u32_e32 v1, v1, v2
	v_add_co_u32 v6, vcc_lo, v6, v0
	s_delay_alu instid0(VALU_DEP_2) | instskip(SKIP_1) | instid1(VALU_DEP_1)
	v_add_nc_u32_e32 v1, v1, v3
	s_wait_alu 0xfffd
	v_add_co_ci_u32_e64 v7, null, v7, v1, vcc_lo
	global_store_b64 v[6:7], v[15:16], off
	global_wb scope:SCOPE_SYS
	s_wait_storecnt 0x0
	global_atomic_cmpswap_b64 v[2:3], v12, v[13:16], s[2:3] offset:32 th:TH_ATOMIC_RETURN scope:SCOPE_SYS
	s_wait_loadcnt 0x0
	v_cmpx_ne_u64_e64 v[2:3], v[15:16]
	s_cbranch_execz .LBB27_234
; %bb.232:
	s_mov_b32 s7, 0
.LBB27_233:                             ; =>This Inner Loop Header: Depth=1
	v_dual_mov_b32 v0, s4 :: v_dual_mov_b32 v1, s5
	s_sleep 1
	global_store_b64 v[6:7], v[2:3], off
	global_wb scope:SCOPE_SYS
	s_wait_storecnt 0x0
	global_atomic_cmpswap_b64 v[0:1], v12, v[0:3], s[2:3] offset:32 th:TH_ATOMIC_RETURN scope:SCOPE_SYS
	s_wait_loadcnt 0x0
	v_cmp_eq_u64_e32 vcc_lo, v[0:1], v[2:3]
	v_dual_mov_b32 v3, v1 :: v_dual_mov_b32 v2, v0
	s_wait_alu 0xfffe
	s_or_b32 s7, vcc_lo, s7
	s_wait_alu 0xfffe
	s_and_not1_b32 exec_lo, exec_lo, s7
	s_cbranch_execnz .LBB27_233
.LBB27_234:
	s_wait_alu 0xfffe
	s_or_b32 exec_lo, exec_lo, s6
	v_mov_b32_e32 v3, 0
	s_mov_b32 s7, exec_lo
	s_mov_b32 s6, exec_lo
	s_wait_alu 0xfffe
	v_mbcnt_lo_u32_b32 v2, s7, 0
	global_load_b64 v[0:1], v3, s[2:3] offset:16
	v_cmpx_eq_u32_e32 0, v2
	s_cbranch_execz .LBB27_236
; %bb.235:
	s_bcnt1_i32_b32 s7, s7
	s_wait_alu 0xfffe
	v_mov_b32_e32 v2, s7
	global_wb scope:SCOPE_SYS
	s_wait_loadcnt 0x0
	s_wait_storecnt 0x0
	global_atomic_add_u64 v[0:1], v[2:3], off offset:8 scope:SCOPE_SYS
.LBB27_236:
	s_or_b32 exec_lo, exec_lo, s6
	s_wait_loadcnt 0x0
	global_load_b64 v[2:3], v[0:1], off offset:16
	s_wait_loadcnt 0x0
	v_cmp_eq_u64_e32 vcc_lo, 0, v[2:3]
	s_cbranch_vccnz .LBB27_238
; %bb.237:
	global_load_b32 v0, v[0:1], off offset:24
	v_mov_b32_e32 v1, 0
	s_wait_loadcnt 0x0
	v_readfirstlane_b32 s6, v0
	global_wb scope:SCOPE_SYS
	s_wait_storecnt 0x0
	global_store_b64 v[2:3], v[0:1], off scope:SCOPE_SYS
	s_and_b32 m0, s6, 0xffffff
	s_sendmsg sendmsg(MSG_INTERRUPT)
.LBB27_238:
	s_wait_alu 0xfffe
	s_or_b32 exec_lo, exec_lo, s1
	s_branch .LBB27_242
.LBB27_239:                             ;   in Loop: Header=BB27_242 Depth=1
	s_wait_alu 0xfffe
	s_or_b32 exec_lo, exec_lo, s1
	s_delay_alu instid0(VALU_DEP_1)
	v_readfirstlane_b32 s1, v0
	s_cmp_eq_u32 s1, 0
	s_cbranch_scc1 .LBB27_241
; %bb.240:                              ;   in Loop: Header=BB27_242 Depth=1
	s_sleep 1
	s_cbranch_execnz .LBB27_242
	s_branch .LBB27_244
.LBB27_241:
	s_branch .LBB27_244
.LBB27_242:                             ; =>This Inner Loop Header: Depth=1
	v_mov_b32_e32 v0, 1
	s_and_saveexec_b32 s1, s0
	s_cbranch_execz .LBB27_239
; %bb.243:                              ;   in Loop: Header=BB27_242 Depth=1
	global_load_b32 v0, v[10:11], off offset:20 scope:SCOPE_SYS
	s_wait_loadcnt 0x0
	global_inv scope:SCOPE_SYS
	v_and_b32_e32 v0, 1, v0
	s_branch .LBB27_239
.LBB27_244:
	global_load_b64 v[6:7], v[8:9], off
	s_and_saveexec_b32 s6, s0
	s_cbranch_execz .LBB27_248
; %bb.245:
	v_mov_b32_e32 v10, 0
	s_clause 0x2
	global_load_b64 v[0:1], v10, s[2:3] offset:40
	global_load_b64 v[13:14], v10, s[2:3] offset:24 scope:SCOPE_SYS
	global_load_b64 v[2:3], v10, s[2:3]
	s_wait_loadcnt 0x2
	v_readfirstlane_b32 s10, v0
	v_readfirstlane_b32 s11, v1
	s_add_nc_u64 s[0:1], s[10:11], 1
	s_wait_alu 0xfffe
	s_add_nc_u64 s[4:5], s[0:1], s[4:5]
	s_wait_alu 0xfffe
	s_cmp_eq_u64 s[4:5], 0
	s_cselect_b32 s1, s1, s5
	s_cselect_b32 s0, s0, s4
	s_wait_alu 0xfffe
	v_mov_b32_e32 v12, s1
	s_and_b64 s[4:5], s[0:1], s[10:11]
	v_mov_b32_e32 v11, s0
	s_wait_alu 0xfffe
	s_mul_u64 s[4:5], s[4:5], 24
	s_wait_loadcnt 0x0
	s_wait_alu 0xfffe
	v_add_co_u32 v8, vcc_lo, v2, s4
	s_wait_alu 0xfffd
	v_add_co_ci_u32_e64 v9, null, s5, v3, vcc_lo
	global_store_b64 v[8:9], v[13:14], off
	global_wb scope:SCOPE_SYS
	s_wait_storecnt 0x0
	global_atomic_cmpswap_b64 v[2:3], v10, v[11:14], s[2:3] offset:24 th:TH_ATOMIC_RETURN scope:SCOPE_SYS
	s_wait_loadcnt 0x0
	v_cmp_ne_u64_e32 vcc_lo, v[2:3], v[13:14]
	s_and_b32 exec_lo, exec_lo, vcc_lo
	s_cbranch_execz .LBB27_248
; %bb.246:
	s_mov_b32 s4, 0
.LBB27_247:                             ; =>This Inner Loop Header: Depth=1
	v_dual_mov_b32 v0, s0 :: v_dual_mov_b32 v1, s1
	s_sleep 1
	global_store_b64 v[8:9], v[2:3], off
	global_wb scope:SCOPE_SYS
	s_wait_storecnt 0x0
	global_atomic_cmpswap_b64 v[0:1], v10, v[0:3], s[2:3] offset:24 th:TH_ATOMIC_RETURN scope:SCOPE_SYS
	s_wait_loadcnt 0x0
	v_cmp_eq_u64_e32 vcc_lo, v[0:1], v[2:3]
	v_dual_mov_b32 v3, v1 :: v_dual_mov_b32 v2, v0
	s_wait_alu 0xfffe
	s_or_b32 s4, vcc_lo, s4
	s_wait_alu 0xfffe
	s_and_not1_b32 exec_lo, exec_lo, s4
	s_cbranch_execnz .LBB27_247
.LBB27_248:
	s_wait_alu 0xfffe
	s_or_b32 exec_lo, exec_lo, s6
.LBB27_249:
	v_readfirstlane_b32 s0, v37
	v_mov_b32_e32 v10, 0
	v_mov_b32_e32 v11, 0
	s_wait_alu 0xf1ff
	s_delay_alu instid0(VALU_DEP_3)
	v_cmp_eq_u32_e64 s0, s0, v37
	s_and_saveexec_b32 s1, s0
	s_cbranch_execz .LBB27_255
; %bb.250:
	s_wait_loadcnt 0x0
	v_mov_b32_e32 v0, 0
	s_mov_b32 s4, exec_lo
	global_load_b64 v[12:13], v0, s[2:3] offset:24 scope:SCOPE_SYS
	s_wait_loadcnt 0x0
	global_inv scope:SCOPE_SYS
	s_clause 0x1
	global_load_b64 v[1:2], v0, s[2:3] offset:40
	global_load_b64 v[8:9], v0, s[2:3]
	s_wait_loadcnt 0x1
	v_and_b32_e32 v2, v2, v13
	v_and_b32_e32 v1, v1, v12
	s_delay_alu instid0(VALU_DEP_2) | instskip(NEXT) | instid1(VALU_DEP_2)
	v_mul_lo_u32 v2, 24, v2
	v_mul_lo_u32 v3, 0, v1
	v_mul_hi_u32 v10, 24, v1
	v_mul_lo_u32 v1, 24, v1
	s_delay_alu instid0(VALU_DEP_3) | instskip(SKIP_1) | instid1(VALU_DEP_2)
	v_add_nc_u32_e32 v2, v2, v3
	s_wait_loadcnt 0x0
	v_add_co_u32 v1, vcc_lo, v8, v1
	s_delay_alu instid0(VALU_DEP_2) | instskip(SKIP_1) | instid1(VALU_DEP_1)
	v_add_nc_u32_e32 v2, v2, v10
	s_wait_alu 0xfffd
	v_add_co_ci_u32_e64 v2, null, v9, v2, vcc_lo
	global_load_b64 v[10:11], v[1:2], off scope:SCOPE_SYS
	s_wait_loadcnt 0x0
	global_atomic_cmpswap_b64 v[10:11], v0, v[10:13], s[2:3] offset:24 th:TH_ATOMIC_RETURN scope:SCOPE_SYS
	s_wait_loadcnt 0x0
	global_inv scope:SCOPE_SYS
	v_cmpx_ne_u64_e64 v[10:11], v[12:13]
	s_cbranch_execz .LBB27_254
; %bb.251:
	s_mov_b32 s5, 0
.LBB27_252:                             ; =>This Inner Loop Header: Depth=1
	s_sleep 1
	s_clause 0x1
	global_load_b64 v[1:2], v0, s[2:3] offset:40
	global_load_b64 v[8:9], v0, s[2:3]
	v_dual_mov_b32 v13, v11 :: v_dual_mov_b32 v12, v10
	s_wait_loadcnt 0x1
	s_delay_alu instid0(VALU_DEP_1) | instskip(SKIP_1) | instid1(VALU_DEP_1)
	v_and_b32_e32 v1, v1, v12
	s_wait_loadcnt 0x0
	v_mad_co_u64_u32 v[8:9], null, v1, 24, v[8:9]
	s_delay_alu instid0(VALU_DEP_1) | instskip(NEXT) | instid1(VALU_DEP_1)
	v_dual_mov_b32 v1, v9 :: v_dual_and_b32 v2, v2, v13
	v_mad_co_u64_u32 v[1:2], null, v2, 24, v[1:2]
	s_delay_alu instid0(VALU_DEP_1)
	v_mov_b32_e32 v9, v1
	global_load_b64 v[10:11], v[8:9], off scope:SCOPE_SYS
	s_wait_loadcnt 0x0
	global_atomic_cmpswap_b64 v[10:11], v0, v[10:13], s[2:3] offset:24 th:TH_ATOMIC_RETURN scope:SCOPE_SYS
	s_wait_loadcnt 0x0
	global_inv scope:SCOPE_SYS
	v_cmp_eq_u64_e32 vcc_lo, v[10:11], v[12:13]
	s_wait_alu 0xfffe
	s_or_b32 s5, vcc_lo, s5
	s_wait_alu 0xfffe
	s_and_not1_b32 exec_lo, exec_lo, s5
	s_cbranch_execnz .LBB27_252
; %bb.253:
	s_or_b32 exec_lo, exec_lo, s5
.LBB27_254:
	s_wait_alu 0xfffe
	s_or_b32 exec_lo, exec_lo, s4
.LBB27_255:
	s_wait_alu 0xfffe
	s_or_b32 exec_lo, exec_lo, s1
	v_readfirstlane_b32 s4, v10
	v_mov_b32_e32 v9, 0
	v_readfirstlane_b32 s5, v11
	s_mov_b32 s1, exec_lo
	global_load_b64 v[12:13], v9, s[2:3] offset:40
	s_wait_loadcnt 0x1
	global_load_b128 v[0:3], v9, s[2:3]
	s_wait_loadcnt 0x1
	s_wait_alu 0xf1ff
	v_and_b32_e32 v13, s5, v13
	v_and_b32_e32 v12, s4, v12
	s_delay_alu instid0(VALU_DEP_2) | instskip(NEXT) | instid1(VALU_DEP_2)
	v_mul_lo_u32 v8, 24, v13
	v_mul_lo_u32 v10, 0, v12
	v_mul_hi_u32 v11, 24, v12
	v_mul_lo_u32 v14, 24, v12
	s_delay_alu instid0(VALU_DEP_3) | instskip(SKIP_1) | instid1(VALU_DEP_2)
	v_add_nc_u32_e32 v8, v8, v10
	s_wait_loadcnt 0x0
	v_add_co_u32 v10, vcc_lo, v0, v14
	s_delay_alu instid0(VALU_DEP_2) | instskip(SKIP_1) | instid1(VALU_DEP_1)
	v_add_nc_u32_e32 v8, v8, v11
	s_wait_alu 0xfffd
	v_add_co_ci_u32_e64 v11, null, v1, v8, vcc_lo
	s_and_saveexec_b32 s6, s0
	s_cbranch_execz .LBB27_257
; %bb.256:
	s_wait_alu 0xfffe
	v_dual_mov_b32 v8, s1 :: v_dual_mov_b32 v17, 1
	v_dual_mov_b32 v16, 2 :: v_dual_mov_b32 v15, v9
	s_delay_alu instid0(VALU_DEP_2)
	v_mov_b32_e32 v14, v8
	global_store_b128 v[10:11], v[14:17], off offset:8
.LBB27_257:
	s_wait_alu 0xfffe
	s_or_b32 exec_lo, exec_lo, s6
	v_lshlrev_b64_e32 v[12:13], 12, v[12:13]
	s_mov_b32 s12, 0
	v_and_or_b32 v6, 0xffffff1f, v6, 32
	s_wait_alu 0xfffe
	s_mov_b32 s15, s12
	s_mov_b32 s13, s12
	;; [unrolled: 1-line block ×3, first 2 shown]
	v_add_co_u32 v2, vcc_lo, v2, v12
	s_wait_alu 0xfffd
	v_add_co_ci_u32_e64 v3, null, v3, v13, vcc_lo
	s_wait_alu 0xfffe
	v_dual_mov_b32 v8, 0x27a :: v_dual_mov_b32 v17, s15
	v_add_co_u32 v12, vcc_lo, v2, v36
	v_readfirstlane_b32 s6, v2
	v_readfirstlane_b32 s7, v3
	s_wait_alu 0xfffd
	v_add_co_ci_u32_e64 v13, null, 0, v3, vcc_lo
	v_dual_mov_b32 v16, s14 :: v_dual_mov_b32 v15, s13
	v_mov_b32_e32 v14, s12
	s_clause 0x3
	global_store_b128 v36, v[6:9], s[6:7]
	global_store_b128 v36, v[14:17], s[6:7] offset:16
	global_store_b128 v36, v[14:17], s[6:7] offset:32
	global_store_b128 v36, v[14:17], s[6:7] offset:48
	s_and_saveexec_b32 s1, s0
	s_cbranch_execz .LBB27_265
; %bb.258:
	v_mov_b32_e32 v8, 0
	s_mov_b32 s6, exec_lo
	s_clause 0x1
	global_load_b64 v[16:17], v8, s[2:3] offset:32 scope:SCOPE_SYS
	global_load_b64 v[2:3], v8, s[2:3] offset:40
	v_dual_mov_b32 v15, s5 :: v_dual_mov_b32 v14, s4
	s_wait_loadcnt 0x0
	v_and_b32_e32 v3, s5, v3
	v_and_b32_e32 v2, s4, v2
	s_delay_alu instid0(VALU_DEP_2) | instskip(NEXT) | instid1(VALU_DEP_2)
	v_mul_lo_u32 v3, 24, v3
	v_mul_lo_u32 v6, 0, v2
	v_mul_hi_u32 v7, 24, v2
	v_mul_lo_u32 v2, 24, v2
	s_delay_alu instid0(VALU_DEP_3) | instskip(NEXT) | instid1(VALU_DEP_2)
	v_add_nc_u32_e32 v3, v3, v6
	v_add_co_u32 v6, vcc_lo, v0, v2
	s_delay_alu instid0(VALU_DEP_2) | instskip(SKIP_1) | instid1(VALU_DEP_1)
	v_add_nc_u32_e32 v3, v3, v7
	s_wait_alu 0xfffd
	v_add_co_ci_u32_e64 v7, null, v1, v3, vcc_lo
	global_store_b64 v[6:7], v[16:17], off
	global_wb scope:SCOPE_SYS
	s_wait_storecnt 0x0
	global_atomic_cmpswap_b64 v[2:3], v8, v[14:17], s[2:3] offset:32 th:TH_ATOMIC_RETURN scope:SCOPE_SYS
	s_wait_loadcnt 0x0
	v_cmpx_ne_u64_e64 v[2:3], v[16:17]
	s_cbranch_execz .LBB27_261
; %bb.259:
	s_mov_b32 s7, 0
.LBB27_260:                             ; =>This Inner Loop Header: Depth=1
	v_dual_mov_b32 v0, s4 :: v_dual_mov_b32 v1, s5
	s_sleep 1
	global_store_b64 v[6:7], v[2:3], off
	global_wb scope:SCOPE_SYS
	s_wait_storecnt 0x0
	global_atomic_cmpswap_b64 v[0:1], v8, v[0:3], s[2:3] offset:32 th:TH_ATOMIC_RETURN scope:SCOPE_SYS
	s_wait_loadcnt 0x0
	v_cmp_eq_u64_e32 vcc_lo, v[0:1], v[2:3]
	v_dual_mov_b32 v3, v1 :: v_dual_mov_b32 v2, v0
	s_wait_alu 0xfffe
	s_or_b32 s7, vcc_lo, s7
	s_wait_alu 0xfffe
	s_and_not1_b32 exec_lo, exec_lo, s7
	s_cbranch_execnz .LBB27_260
.LBB27_261:
	s_wait_alu 0xfffe
	s_or_b32 exec_lo, exec_lo, s6
	v_mov_b32_e32 v3, 0
	s_mov_b32 s7, exec_lo
	s_mov_b32 s6, exec_lo
	s_wait_alu 0xfffe
	v_mbcnt_lo_u32_b32 v2, s7, 0
	global_load_b64 v[0:1], v3, s[2:3] offset:16
	v_cmpx_eq_u32_e32 0, v2
	s_cbranch_execz .LBB27_263
; %bb.262:
	s_bcnt1_i32_b32 s7, s7
	s_wait_alu 0xfffe
	v_mov_b32_e32 v2, s7
	global_wb scope:SCOPE_SYS
	s_wait_loadcnt 0x0
	s_wait_storecnt 0x0
	global_atomic_add_u64 v[0:1], v[2:3], off offset:8 scope:SCOPE_SYS
.LBB27_263:
	s_or_b32 exec_lo, exec_lo, s6
	s_wait_loadcnt 0x0
	global_load_b64 v[2:3], v[0:1], off offset:16
	s_wait_loadcnt 0x0
	v_cmp_eq_u64_e32 vcc_lo, 0, v[2:3]
	s_cbranch_vccnz .LBB27_265
; %bb.264:
	global_load_b32 v0, v[0:1], off offset:24
	v_mov_b32_e32 v1, 0
	s_wait_loadcnt 0x0
	v_readfirstlane_b32 s6, v0
	global_wb scope:SCOPE_SYS
	s_wait_storecnt 0x0
	global_store_b64 v[2:3], v[0:1], off scope:SCOPE_SYS
	s_and_b32 m0, s6, 0xffffff
	s_sendmsg sendmsg(MSG_INTERRUPT)
.LBB27_265:
	s_wait_alu 0xfffe
	s_or_b32 exec_lo, exec_lo, s1
	s_branch .LBB27_269
.LBB27_266:                             ;   in Loop: Header=BB27_269 Depth=1
	s_wait_alu 0xfffe
	s_or_b32 exec_lo, exec_lo, s1
	s_delay_alu instid0(VALU_DEP_1)
	v_readfirstlane_b32 s1, v0
	s_cmp_eq_u32 s1, 0
	s_cbranch_scc1 .LBB27_268
; %bb.267:                              ;   in Loop: Header=BB27_269 Depth=1
	s_sleep 1
	s_cbranch_execnz .LBB27_269
	s_branch .LBB27_271
.LBB27_268:
	s_branch .LBB27_271
.LBB27_269:                             ; =>This Inner Loop Header: Depth=1
	v_mov_b32_e32 v0, 1
	s_and_saveexec_b32 s1, s0
	s_cbranch_execz .LBB27_266
; %bb.270:                              ;   in Loop: Header=BB27_269 Depth=1
	global_load_b32 v0, v[10:11], off offset:20 scope:SCOPE_SYS
	s_wait_loadcnt 0x0
	global_inv scope:SCOPE_SYS
	v_and_b32_e32 v0, 1, v0
	s_branch .LBB27_266
.LBB27_271:
	global_load_b64 v[0:1], v[12:13], off
	s_and_saveexec_b32 s6, s0
	s_cbranch_execz .LBB27_275
; %bb.272:
	v_mov_b32_e32 v10, 0
	s_clause 0x2
	global_load_b64 v[2:3], v10, s[2:3] offset:40
	global_load_b64 v[13:14], v10, s[2:3] offset:24 scope:SCOPE_SYS
	global_load_b64 v[6:7], v10, s[2:3]
	s_wait_loadcnt 0x2
	v_readfirstlane_b32 s10, v2
	v_readfirstlane_b32 s11, v3
	s_add_nc_u64 s[0:1], s[10:11], 1
	s_wait_alu 0xfffe
	s_add_nc_u64 s[4:5], s[0:1], s[4:5]
	s_wait_alu 0xfffe
	s_cmp_eq_u64 s[4:5], 0
	s_cselect_b32 s1, s1, s5
	s_cselect_b32 s0, s0, s4
	s_wait_alu 0xfffe
	v_mov_b32_e32 v12, s1
	s_and_b64 s[4:5], s[0:1], s[10:11]
	v_mov_b32_e32 v11, s0
	s_wait_alu 0xfffe
	s_mul_u64 s[4:5], s[4:5], 24
	s_wait_loadcnt 0x0
	s_wait_alu 0xfffe
	v_add_co_u32 v2, vcc_lo, v6, s4
	s_wait_alu 0xfffd
	v_add_co_ci_u32_e64 v3, null, s5, v7, vcc_lo
	global_store_b64 v[2:3], v[13:14], off
	global_wb scope:SCOPE_SYS
	s_wait_storecnt 0x0
	global_atomic_cmpswap_b64 v[8:9], v10, v[11:14], s[2:3] offset:24 th:TH_ATOMIC_RETURN scope:SCOPE_SYS
	s_wait_loadcnt 0x0
	v_cmp_ne_u64_e32 vcc_lo, v[8:9], v[13:14]
	s_and_b32 exec_lo, exec_lo, vcc_lo
	s_cbranch_execz .LBB27_275
; %bb.273:
	s_mov_b32 s4, 0
.LBB27_274:                             ; =>This Inner Loop Header: Depth=1
	v_dual_mov_b32 v6, s0 :: v_dual_mov_b32 v7, s1
	s_sleep 1
	global_store_b64 v[2:3], v[8:9], off
	global_wb scope:SCOPE_SYS
	s_wait_storecnt 0x0
	global_atomic_cmpswap_b64 v[6:7], v10, v[6:9], s[2:3] offset:24 th:TH_ATOMIC_RETURN scope:SCOPE_SYS
	s_wait_loadcnt 0x0
	v_cmp_eq_u64_e32 vcc_lo, v[6:7], v[8:9]
	v_dual_mov_b32 v9, v7 :: v_dual_mov_b32 v8, v6
	s_wait_alu 0xfffe
	s_or_b32 s4, vcc_lo, s4
	s_wait_alu 0xfffe
	s_and_not1_b32 exec_lo, exec_lo, s4
	s_cbranch_execnz .LBB27_274
.LBB27_275:
	s_wait_alu 0xfffe
	s_or_b32 exec_lo, exec_lo, s6
	v_dual_mov_b32 v7, v5 :: v_dual_mov_b32 v6, v4
	s_mov_b32 s0, 0
.LBB27_276:                             ; =>This Inner Loop Header: Depth=1
	global_load_u8 v8, v[6:7], off
	v_add_co_u32 v2, vcc_lo, v6, 1
	s_wait_alu 0xfffd
	v_add_co_ci_u32_e64 v3, null, 0, v7, vcc_lo
	s_delay_alu instid0(VALU_DEP_1)
	v_dual_mov_b32 v7, v3 :: v_dual_mov_b32 v6, v2
	s_wait_loadcnt 0x0
	v_cmp_eq_u16_e32 vcc_lo, 0, v8
	s_wait_alu 0xfffe
	s_or_b32 s0, vcc_lo, s0
	s_wait_alu 0xfffe
	s_and_not1_b32 exec_lo, exec_lo, s0
	s_cbranch_execnz .LBB27_276
; %bb.277:
	s_or_b32 exec_lo, exec_lo, s0
	s_delay_alu instid0(SALU_CYCLE_1)
	s_mov_b32 s0, exec_lo
	v_cmpx_ne_u64_e32 0, v[4:5]
	s_wait_alu 0xfffe
	s_xor_b32 s6, exec_lo, s0
	s_cbranch_execz .LBB27_363
; %bb.278:
	v_sub_nc_u32_e32 v26, v2, v4
	v_dual_mov_b32 v7, 0 :: v_dual_and_b32 v34, 2, v0
	v_dual_mov_b32 v9, 1 :: v_dual_and_b32 v0, -3, v0
	v_mov_b32_e32 v8, 2
	s_delay_alu instid0(VALU_DEP_4)
	v_ashrrev_i32_e32 v27, 31, v26
	s_mov_b32 s10, 0
	s_mov_b32 s7, 0
	s_branch .LBB27_280
.LBB27_279:                             ;   in Loop: Header=BB27_280 Depth=1
	s_wait_alu 0xfffe
	s_or_b32 exec_lo, exec_lo, s11
	v_sub_co_u32 v26, vcc_lo, v26, v28
	s_wait_alu 0xfffd
	v_sub_co_ci_u32_e64 v27, null, v27, v29, vcc_lo
	v_add_co_u32 v4, s0, v4, v28
	s_wait_alu 0xf1ff
	v_add_co_ci_u32_e64 v5, null, v5, v29, s0
	s_delay_alu instid0(VALU_DEP_3)
	v_cmp_eq_u64_e32 vcc_lo, 0, v[26:27]
	s_or_b32 s7, vcc_lo, s7
	s_wait_alu 0xfffe
	s_and_not1_b32 exec_lo, exec_lo, s7
	s_cbranch_execz .LBB27_362
.LBB27_280:                             ; =>This Loop Header: Depth=1
                                        ;     Child Loop BB27_283 Depth 2
                                        ;     Child Loop BB27_291 Depth 2
                                        ;     Child Loop BB27_299 Depth 2
                                        ;     Child Loop BB27_307 Depth 2
                                        ;     Child Loop BB27_315 Depth 2
                                        ;     Child Loop BB27_323 Depth 2
                                        ;     Child Loop BB27_331 Depth 2
                                        ;     Child Loop BB27_339 Depth 2
                                        ;     Child Loop BB27_347 Depth 2
                                        ;     Child Loop BB27_356 Depth 2
                                        ;     Child Loop BB27_361 Depth 2
	s_delay_alu instid0(VALU_DEP_1)
	v_cmp_gt_u64_e32 vcc_lo, 56, v[26:27]
	s_mov_b32 s1, exec_lo
	s_wait_alu 0xfffd
	v_dual_cndmask_b32 v29, 0, v27 :: v_dual_cndmask_b32 v28, 56, v26
	v_add_co_u32 v12, vcc_lo, v4, 8
	s_wait_alu 0xfffd
	v_add_co_ci_u32_e64 v13, null, 0, v5, vcc_lo
	v_cmpx_gt_u64_e32 8, v[26:27]
	s_wait_alu 0xfffe
	s_xor_b32 s1, exec_lo, s1
	s_cbranch_execz .LBB27_286
; %bb.281:                              ;   in Loop: Header=BB27_280 Depth=1
	v_mov_b32_e32 v2, 0
	v_mov_b32_e32 v3, 0
	s_mov_b32 s11, exec_lo
	v_cmpx_ne_u64_e32 0, v[26:27]
	s_cbranch_execz .LBB27_285
; %bb.282:                              ;   in Loop: Header=BB27_280 Depth=1
	v_lshlrev_b64_e32 v[10:11], 3, v[28:29]
	v_mov_b32_e32 v2, 0
	v_dual_mov_b32 v3, 0 :: v_dual_mov_b32 v12, v5
	v_mov_b32_e32 v11, v4
	s_mov_b64 s[4:5], 0
	s_mov_b32 s12, 0
.LBB27_283:                             ;   Parent Loop BB27_280 Depth=1
                                        ; =>  This Inner Loop Header: Depth=2
	global_load_u8 v6, v[11:12], off
	v_mov_b32_e32 v14, s10
	v_add_co_u32 v11, vcc_lo, v11, 1
	s_wait_alu 0xfffd
	v_add_co_ci_u32_e64 v12, null, 0, v12, vcc_lo
	s_wait_loadcnt 0x0
	v_and_b32_e32 v13, 0xffff, v6
	s_wait_alu 0xfffe
	s_delay_alu instid0(VALU_DEP_1) | instskip(SKIP_3) | instid1(VALU_DEP_2)
	v_lshlrev_b64_e32 v[13:14], s4, v[13:14]
	s_add_nc_u64 s[4:5], s[4:5], 8
	s_wait_alu 0xfffe
	v_cmp_eq_u32_e64 s0, s4, v10
	v_or_b32_e32 v3, v14, v3
	s_delay_alu instid0(VALU_DEP_3)
	v_or_b32_e32 v2, v13, v2
	s_or_b32 s12, s0, s12
	s_wait_alu 0xfffe
	s_and_not1_b32 exec_lo, exec_lo, s12
	s_cbranch_execnz .LBB27_283
; %bb.284:                              ;   in Loop: Header=BB27_280 Depth=1
	s_or_b32 exec_lo, exec_lo, s12
.LBB27_285:                             ;   in Loop: Header=BB27_280 Depth=1
	s_wait_alu 0xfffe
	s_or_b32 exec_lo, exec_lo, s11
	v_dual_mov_b32 v13, v5 :: v_dual_mov_b32 v12, v4
.LBB27_286:                             ;   in Loop: Header=BB27_280 Depth=1
	s_wait_alu 0xfffe
	s_or_saveexec_b32 s0, s1
	v_mov_b32_e32 v6, 0
	s_wait_alu 0xfffe
	s_xor_b32 exec_lo, exec_lo, s0
	s_cbranch_execz .LBB27_288
; %bb.287:                              ;   in Loop: Header=BB27_280 Depth=1
	global_load_b64 v[2:3], v[4:5], off
	v_add_nc_u32_e32 v6, -8, v28
.LBB27_288:                             ;   in Loop: Header=BB27_280 Depth=1
	s_or_b32 exec_lo, exec_lo, s0
	v_add_co_u32 v14, s0, v12, 8
	s_wait_alu 0xf1ff
	v_add_co_ci_u32_e64 v15, null, 0, v13, s0
                                        ; implicit-def: $vgpr10_vgpr11
	s_mov_b32 s0, exec_lo
	v_cmpx_gt_u32_e32 8, v6
	s_wait_alu 0xfffe
	s_xor_b32 s11, exec_lo, s0
	s_cbranch_execz .LBB27_294
; %bb.289:                              ;   in Loop: Header=BB27_280 Depth=1
	v_mov_b32_e32 v10, 0
	v_mov_b32_e32 v11, 0
	s_mov_b32 s12, exec_lo
	v_cmpx_ne_u32_e32 0, v6
	s_cbranch_execz .LBB27_293
; %bb.290:                              ;   in Loop: Header=BB27_280 Depth=1
	v_mov_b32_e32 v10, 0
	v_mov_b32_e32 v11, 0
	s_mov_b64 s[0:1], 0
	s_mov_b32 s13, 0
	s_mov_b64 s[4:5], 0
.LBB27_291:                             ;   Parent Loop BB27_280 Depth=1
                                        ; =>  This Inner Loop Header: Depth=2
	s_wait_alu 0xfffe
	v_add_co_u32 v14, vcc_lo, v12, s4
	s_wait_alu 0xfffd
	v_add_co_ci_u32_e64 v15, null, s5, v13, vcc_lo
	s_add_nc_u64 s[4:5], s[4:5], 1
	s_wait_alu 0xfffe
	v_cmp_eq_u32_e32 vcc_lo, s4, v6
	global_load_u8 v14, v[14:15], off
	v_mov_b32_e32 v15, s10
	s_or_b32 s13, vcc_lo, s13
	s_wait_loadcnt 0x0
	v_and_b32_e32 v14, 0xffff, v14
	s_delay_alu instid0(VALU_DEP_1) | instskip(SKIP_1) | instid1(VALU_DEP_1)
	v_lshlrev_b64_e32 v[14:15], s0, v[14:15]
	s_add_nc_u64 s[0:1], s[0:1], 8
	v_or_b32_e32 v11, v15, v11
	s_delay_alu instid0(VALU_DEP_2)
	v_or_b32_e32 v10, v14, v10
	s_wait_alu 0xfffe
	s_and_not1_b32 exec_lo, exec_lo, s13
	s_cbranch_execnz .LBB27_291
; %bb.292:                              ;   in Loop: Header=BB27_280 Depth=1
	s_or_b32 exec_lo, exec_lo, s13
.LBB27_293:                             ;   in Loop: Header=BB27_280 Depth=1
	s_wait_alu 0xfffe
	s_or_b32 exec_lo, exec_lo, s12
	v_dual_mov_b32 v15, v13 :: v_dual_mov_b32 v14, v12
                                        ; implicit-def: $vgpr6
.LBB27_294:                             ;   in Loop: Header=BB27_280 Depth=1
	s_wait_alu 0xfffe
	s_or_saveexec_b32 s0, s11
	v_mov_b32_e32 v18, 0
	s_wait_alu 0xfffe
	s_xor_b32 exec_lo, exec_lo, s0
	s_cbranch_execz .LBB27_296
; %bb.295:                              ;   in Loop: Header=BB27_280 Depth=1
	global_load_b64 v[10:11], v[12:13], off
	v_add_nc_u32_e32 v18, -8, v6
.LBB27_296:                             ;   in Loop: Header=BB27_280 Depth=1
	s_or_b32 exec_lo, exec_lo, s0
	v_add_co_u32 v16, s0, v14, 8
	s_wait_alu 0xf1ff
	v_add_co_ci_u32_e64 v17, null, 0, v15, s0
	s_mov_b32 s0, exec_lo
	v_cmpx_gt_u32_e32 8, v18
	s_wait_alu 0xfffe
	s_xor_b32 s11, exec_lo, s0
	s_cbranch_execz .LBB27_302
; %bb.297:                              ;   in Loop: Header=BB27_280 Depth=1
	v_mov_b32_e32 v12, 0
	v_mov_b32_e32 v13, 0
	s_mov_b32 s12, exec_lo
	v_cmpx_ne_u32_e32 0, v18
	s_cbranch_execz .LBB27_301
; %bb.298:                              ;   in Loop: Header=BB27_280 Depth=1
	v_mov_b32_e32 v12, 0
	v_mov_b32_e32 v13, 0
	s_mov_b64 s[0:1], 0
	s_mov_b32 s13, 0
	s_mov_b64 s[4:5], 0
.LBB27_299:                             ;   Parent Loop BB27_280 Depth=1
                                        ; =>  This Inner Loop Header: Depth=2
	s_wait_alu 0xfffe
	v_add_co_u32 v16, vcc_lo, v14, s4
	s_wait_alu 0xfffd
	v_add_co_ci_u32_e64 v17, null, s5, v15, vcc_lo
	s_add_nc_u64 s[4:5], s[4:5], 1
	s_wait_alu 0xfffe
	v_cmp_eq_u32_e32 vcc_lo, s4, v18
	global_load_u8 v6, v[16:17], off
	v_mov_b32_e32 v17, s10
	s_or_b32 s13, vcc_lo, s13
	s_wait_loadcnt 0x0
	v_and_b32_e32 v16, 0xffff, v6
	s_delay_alu instid0(VALU_DEP_1) | instskip(SKIP_1) | instid1(VALU_DEP_1)
	v_lshlrev_b64_e32 v[16:17], s0, v[16:17]
	s_add_nc_u64 s[0:1], s[0:1], 8
	v_or_b32_e32 v13, v17, v13
	s_delay_alu instid0(VALU_DEP_2)
	v_or_b32_e32 v12, v16, v12
	s_wait_alu 0xfffe
	s_and_not1_b32 exec_lo, exec_lo, s13
	s_cbranch_execnz .LBB27_299
; %bb.300:                              ;   in Loop: Header=BB27_280 Depth=1
	s_or_b32 exec_lo, exec_lo, s13
.LBB27_301:                             ;   in Loop: Header=BB27_280 Depth=1
	s_wait_alu 0xfffe
	s_or_b32 exec_lo, exec_lo, s12
	v_dual_mov_b32 v17, v15 :: v_dual_mov_b32 v16, v14
                                        ; implicit-def: $vgpr18
.LBB27_302:                             ;   in Loop: Header=BB27_280 Depth=1
	s_wait_alu 0xfffe
	s_or_saveexec_b32 s0, s11
	v_mov_b32_e32 v6, 0
	s_wait_alu 0xfffe
	s_xor_b32 exec_lo, exec_lo, s0
	s_cbranch_execz .LBB27_304
; %bb.303:                              ;   in Loop: Header=BB27_280 Depth=1
	global_load_b64 v[12:13], v[14:15], off
	v_add_nc_u32_e32 v6, -8, v18
.LBB27_304:                             ;   in Loop: Header=BB27_280 Depth=1
	s_or_b32 exec_lo, exec_lo, s0
	v_add_co_u32 v18, s0, v16, 8
	s_wait_alu 0xf1ff
	v_add_co_ci_u32_e64 v19, null, 0, v17, s0
                                        ; implicit-def: $vgpr14_vgpr15
	s_mov_b32 s0, exec_lo
	v_cmpx_gt_u32_e32 8, v6
	s_wait_alu 0xfffe
	s_xor_b32 s11, exec_lo, s0
	s_cbranch_execz .LBB27_310
; %bb.305:                              ;   in Loop: Header=BB27_280 Depth=1
	v_mov_b32_e32 v14, 0
	v_mov_b32_e32 v15, 0
	s_mov_b32 s12, exec_lo
	v_cmpx_ne_u32_e32 0, v6
	s_cbranch_execz .LBB27_309
; %bb.306:                              ;   in Loop: Header=BB27_280 Depth=1
	v_mov_b32_e32 v14, 0
	v_mov_b32_e32 v15, 0
	s_mov_b64 s[0:1], 0
	s_mov_b32 s13, 0
	s_mov_b64 s[4:5], 0
.LBB27_307:                             ;   Parent Loop BB27_280 Depth=1
                                        ; =>  This Inner Loop Header: Depth=2
	s_wait_alu 0xfffe
	v_add_co_u32 v18, vcc_lo, v16, s4
	s_wait_alu 0xfffd
	v_add_co_ci_u32_e64 v19, null, s5, v17, vcc_lo
	s_add_nc_u64 s[4:5], s[4:5], 1
	s_wait_alu 0xfffe
	v_cmp_eq_u32_e32 vcc_lo, s4, v6
	global_load_u8 v18, v[18:19], off
	v_mov_b32_e32 v19, s10
	s_or_b32 s13, vcc_lo, s13
	s_wait_loadcnt 0x0
	v_and_b32_e32 v18, 0xffff, v18
	s_delay_alu instid0(VALU_DEP_1) | instskip(SKIP_1) | instid1(VALU_DEP_1)
	v_lshlrev_b64_e32 v[18:19], s0, v[18:19]
	s_add_nc_u64 s[0:1], s[0:1], 8
	v_or_b32_e32 v15, v19, v15
	s_delay_alu instid0(VALU_DEP_2)
	v_or_b32_e32 v14, v18, v14
	s_wait_alu 0xfffe
	s_and_not1_b32 exec_lo, exec_lo, s13
	s_cbranch_execnz .LBB27_307
; %bb.308:                              ;   in Loop: Header=BB27_280 Depth=1
	s_or_b32 exec_lo, exec_lo, s13
.LBB27_309:                             ;   in Loop: Header=BB27_280 Depth=1
	s_wait_alu 0xfffe
	s_or_b32 exec_lo, exec_lo, s12
	v_dual_mov_b32 v19, v17 :: v_dual_mov_b32 v18, v16
                                        ; implicit-def: $vgpr6
.LBB27_310:                             ;   in Loop: Header=BB27_280 Depth=1
	s_wait_alu 0xfffe
	s_or_saveexec_b32 s0, s11
	v_mov_b32_e32 v22, 0
	s_wait_alu 0xfffe
	s_xor_b32 exec_lo, exec_lo, s0
	s_cbranch_execz .LBB27_312
; %bb.311:                              ;   in Loop: Header=BB27_280 Depth=1
	global_load_b64 v[14:15], v[16:17], off
	v_add_nc_u32_e32 v22, -8, v6
.LBB27_312:                             ;   in Loop: Header=BB27_280 Depth=1
	s_or_b32 exec_lo, exec_lo, s0
	v_add_co_u32 v20, s0, v18, 8
	s_wait_alu 0xf1ff
	v_add_co_ci_u32_e64 v21, null, 0, v19, s0
	s_mov_b32 s0, exec_lo
	v_cmpx_gt_u32_e32 8, v22
	s_wait_alu 0xfffe
	s_xor_b32 s11, exec_lo, s0
	s_cbranch_execz .LBB27_318
; %bb.313:                              ;   in Loop: Header=BB27_280 Depth=1
	v_mov_b32_e32 v16, 0
	v_mov_b32_e32 v17, 0
	s_mov_b32 s12, exec_lo
	v_cmpx_ne_u32_e32 0, v22
	s_cbranch_execz .LBB27_317
; %bb.314:                              ;   in Loop: Header=BB27_280 Depth=1
	v_mov_b32_e32 v16, 0
	v_mov_b32_e32 v17, 0
	s_mov_b64 s[0:1], 0
	s_mov_b32 s13, 0
	s_mov_b64 s[4:5], 0
.LBB27_315:                             ;   Parent Loop BB27_280 Depth=1
                                        ; =>  This Inner Loop Header: Depth=2
	s_wait_alu 0xfffe
	v_add_co_u32 v20, vcc_lo, v18, s4
	s_wait_alu 0xfffd
	v_add_co_ci_u32_e64 v21, null, s5, v19, vcc_lo
	s_add_nc_u64 s[4:5], s[4:5], 1
	s_wait_alu 0xfffe
	v_cmp_eq_u32_e32 vcc_lo, s4, v22
	global_load_u8 v6, v[20:21], off
	v_mov_b32_e32 v21, s10
	s_or_b32 s13, vcc_lo, s13
	s_wait_loadcnt 0x0
	v_and_b32_e32 v20, 0xffff, v6
	s_delay_alu instid0(VALU_DEP_1) | instskip(SKIP_1) | instid1(VALU_DEP_1)
	v_lshlrev_b64_e32 v[20:21], s0, v[20:21]
	s_add_nc_u64 s[0:1], s[0:1], 8
	v_or_b32_e32 v17, v21, v17
	s_delay_alu instid0(VALU_DEP_2)
	v_or_b32_e32 v16, v20, v16
	s_wait_alu 0xfffe
	s_and_not1_b32 exec_lo, exec_lo, s13
	s_cbranch_execnz .LBB27_315
; %bb.316:                              ;   in Loop: Header=BB27_280 Depth=1
	s_or_b32 exec_lo, exec_lo, s13
.LBB27_317:                             ;   in Loop: Header=BB27_280 Depth=1
	s_wait_alu 0xfffe
	s_or_b32 exec_lo, exec_lo, s12
	v_dual_mov_b32 v21, v19 :: v_dual_mov_b32 v20, v18
                                        ; implicit-def: $vgpr22
.LBB27_318:                             ;   in Loop: Header=BB27_280 Depth=1
	s_wait_alu 0xfffe
	s_or_saveexec_b32 s0, s11
	v_mov_b32_e32 v6, 0
	s_wait_alu 0xfffe
	s_xor_b32 exec_lo, exec_lo, s0
	s_cbranch_execz .LBB27_320
; %bb.319:                              ;   in Loop: Header=BB27_280 Depth=1
	global_load_b64 v[16:17], v[18:19], off
	v_add_nc_u32_e32 v6, -8, v22
.LBB27_320:                             ;   in Loop: Header=BB27_280 Depth=1
	s_or_b32 exec_lo, exec_lo, s0
	v_add_co_u32 v22, s0, v20, 8
	s_wait_alu 0xf1ff
	v_add_co_ci_u32_e64 v23, null, 0, v21, s0
                                        ; implicit-def: $vgpr18_vgpr19
	s_mov_b32 s0, exec_lo
	v_cmpx_gt_u32_e32 8, v6
	s_wait_alu 0xfffe
	s_xor_b32 s11, exec_lo, s0
	s_cbranch_execz .LBB27_326
; %bb.321:                              ;   in Loop: Header=BB27_280 Depth=1
	v_mov_b32_e32 v18, 0
	v_mov_b32_e32 v19, 0
	s_mov_b32 s12, exec_lo
	v_cmpx_ne_u32_e32 0, v6
	s_cbranch_execz .LBB27_325
; %bb.322:                              ;   in Loop: Header=BB27_280 Depth=1
	v_mov_b32_e32 v18, 0
	v_mov_b32_e32 v19, 0
	s_mov_b64 s[0:1], 0
	s_mov_b32 s13, 0
	s_mov_b64 s[4:5], 0
.LBB27_323:                             ;   Parent Loop BB27_280 Depth=1
                                        ; =>  This Inner Loop Header: Depth=2
	s_wait_alu 0xfffe
	v_add_co_u32 v22, vcc_lo, v20, s4
	s_wait_alu 0xfffd
	v_add_co_ci_u32_e64 v23, null, s5, v21, vcc_lo
	s_add_nc_u64 s[4:5], s[4:5], 1
	s_wait_alu 0xfffe
	v_cmp_eq_u32_e32 vcc_lo, s4, v6
	global_load_u8 v22, v[22:23], off
	v_mov_b32_e32 v23, s10
	s_or_b32 s13, vcc_lo, s13
	s_wait_loadcnt 0x0
	v_and_b32_e32 v22, 0xffff, v22
	s_delay_alu instid0(VALU_DEP_1) | instskip(SKIP_1) | instid1(VALU_DEP_1)
	v_lshlrev_b64_e32 v[22:23], s0, v[22:23]
	s_add_nc_u64 s[0:1], s[0:1], 8
	v_or_b32_e32 v19, v23, v19
	s_delay_alu instid0(VALU_DEP_2)
	v_or_b32_e32 v18, v22, v18
	s_wait_alu 0xfffe
	s_and_not1_b32 exec_lo, exec_lo, s13
	s_cbranch_execnz .LBB27_323
; %bb.324:                              ;   in Loop: Header=BB27_280 Depth=1
	s_or_b32 exec_lo, exec_lo, s13
.LBB27_325:                             ;   in Loop: Header=BB27_280 Depth=1
	s_wait_alu 0xfffe
	s_or_b32 exec_lo, exec_lo, s12
	v_dual_mov_b32 v23, v21 :: v_dual_mov_b32 v22, v20
                                        ; implicit-def: $vgpr6
.LBB27_326:                             ;   in Loop: Header=BB27_280 Depth=1
	s_wait_alu 0xfffe
	s_or_saveexec_b32 s0, s11
	v_mov_b32_e32 v24, 0
	s_wait_alu 0xfffe
	s_xor_b32 exec_lo, exec_lo, s0
	s_cbranch_execz .LBB27_328
; %bb.327:                              ;   in Loop: Header=BB27_280 Depth=1
	global_load_b64 v[18:19], v[20:21], off
	v_add_nc_u32_e32 v24, -8, v6
.LBB27_328:                             ;   in Loop: Header=BB27_280 Depth=1
	s_or_b32 exec_lo, exec_lo, s0
	s_delay_alu instid0(SALU_CYCLE_1) | instskip(NEXT) | instid1(VALU_DEP_1)
	s_mov_b32 s0, exec_lo
	v_cmpx_gt_u32_e32 8, v24
	s_wait_alu 0xfffe
	s_xor_b32 s1, exec_lo, s0
	s_cbranch_execz .LBB27_334
; %bb.329:                              ;   in Loop: Header=BB27_280 Depth=1
	v_mov_b32_e32 v20, 0
	v_mov_b32_e32 v21, 0
	s_mov_b32 s11, exec_lo
	v_cmpx_ne_u32_e32 0, v24
	s_cbranch_execz .LBB27_333
; %bb.330:                              ;   in Loop: Header=BB27_280 Depth=1
	v_mov_b32_e32 v20, 0
	v_mov_b32_e32 v21, 0
	s_mov_b64 s[4:5], 0
	s_mov_b32 s12, 0
.LBB27_331:                             ;   Parent Loop BB27_280 Depth=1
                                        ; =>  This Inner Loop Header: Depth=2
	global_load_u8 v6, v[22:23], off
	v_dual_mov_b32 v31, s10 :: v_dual_add_nc_u32 v24, -1, v24
	v_add_co_u32 v22, vcc_lo, v22, 1
	s_wait_alu 0xfffd
	v_add_co_ci_u32_e64 v23, null, 0, v23, vcc_lo
	s_delay_alu instid0(VALU_DEP_3) | instskip(SKIP_4) | instid1(VALU_DEP_1)
	v_cmp_eq_u32_e64 s0, 0, v24
	s_wait_alu 0xfffe
	s_or_b32 s12, s0, s12
	s_wait_loadcnt 0x0
	v_and_b32_e32 v30, 0xffff, v6
	v_lshlrev_b64_e32 v[30:31], s4, v[30:31]
	s_add_nc_u64 s[4:5], s[4:5], 8
	s_delay_alu instid0(VALU_DEP_1) | instskip(NEXT) | instid1(VALU_DEP_2)
	v_or_b32_e32 v21, v31, v21
	v_or_b32_e32 v20, v30, v20
	s_wait_alu 0xfffe
	s_and_not1_b32 exec_lo, exec_lo, s12
	s_cbranch_execnz .LBB27_331
; %bb.332:                              ;   in Loop: Header=BB27_280 Depth=1
	s_or_b32 exec_lo, exec_lo, s12
.LBB27_333:                             ;   in Loop: Header=BB27_280 Depth=1
	s_wait_alu 0xfffe
	s_or_b32 exec_lo, exec_lo, s11
                                        ; implicit-def: $vgpr22_vgpr23
.LBB27_334:                             ;   in Loop: Header=BB27_280 Depth=1
	s_wait_alu 0xfffe
	s_and_not1_saveexec_b32 s0, s1
	s_cbranch_execz .LBB27_336
; %bb.335:                              ;   in Loop: Header=BB27_280 Depth=1
	global_load_b64 v[20:21], v[22:23], off
.LBB27_336:                             ;   in Loop: Header=BB27_280 Depth=1
	s_wait_alu 0xfffe
	s_or_b32 exec_lo, exec_lo, s0
	v_readfirstlane_b32 s0, v37
	v_mov_b32_e32 v30, 0
	v_mov_b32_e32 v31, 0
	s_wait_alu 0xf1ff
	s_delay_alu instid0(VALU_DEP_3)
	v_cmp_eq_u32_e64 s0, s0, v37
	s_and_saveexec_b32 s1, s0
	s_cbranch_execz .LBB27_342
; %bb.337:                              ;   in Loop: Header=BB27_280 Depth=1
	global_load_b64 v[24:25], v7, s[2:3] offset:24 scope:SCOPE_SYS
	s_wait_loadcnt 0x0
	global_inv scope:SCOPE_SYS
	s_clause 0x1
	global_load_b64 v[22:23], v7, s[2:3] offset:40
	global_load_b64 v[30:31], v7, s[2:3]
	s_mov_b32 s4, exec_lo
	s_wait_loadcnt 0x1
	v_and_b32_e32 v6, v23, v25
	v_and_b32_e32 v22, v22, v24
	s_delay_alu instid0(VALU_DEP_2) | instskip(NEXT) | instid1(VALU_DEP_2)
	v_mul_lo_u32 v6, 24, v6
	v_mul_lo_u32 v23, 0, v22
	v_mul_hi_u32 v32, 24, v22
	v_mul_lo_u32 v22, 24, v22
	s_delay_alu instid0(VALU_DEP_3) | instskip(SKIP_1) | instid1(VALU_DEP_2)
	v_add_nc_u32_e32 v6, v6, v23
	s_wait_loadcnt 0x0
	v_add_co_u32 v22, vcc_lo, v30, v22
	s_delay_alu instid0(VALU_DEP_2) | instskip(SKIP_1) | instid1(VALU_DEP_1)
	v_add_nc_u32_e32 v6, v6, v32
	s_wait_alu 0xfffd
	v_add_co_ci_u32_e64 v23, null, v31, v6, vcc_lo
	global_load_b64 v[22:23], v[22:23], off scope:SCOPE_SYS
	s_wait_loadcnt 0x0
	global_atomic_cmpswap_b64 v[30:31], v7, v[22:25], s[2:3] offset:24 th:TH_ATOMIC_RETURN scope:SCOPE_SYS
	s_wait_loadcnt 0x0
	global_inv scope:SCOPE_SYS
	v_cmpx_ne_u64_e64 v[30:31], v[24:25]
	s_cbranch_execz .LBB27_341
; %bb.338:                              ;   in Loop: Header=BB27_280 Depth=1
	s_mov_b32 s5, 0
.LBB27_339:                             ;   Parent Loop BB27_280 Depth=1
                                        ; =>  This Inner Loop Header: Depth=2
	s_sleep 1
	s_clause 0x1
	global_load_b64 v[22:23], v7, s[2:3] offset:40
	global_load_b64 v[32:33], v7, s[2:3]
	v_dual_mov_b32 v24, v30 :: v_dual_mov_b32 v25, v31
	s_wait_loadcnt 0x1
	s_delay_alu instid0(VALU_DEP_1) | instskip(NEXT) | instid1(VALU_DEP_2)
	v_and_b32_e32 v6, v22, v24
	v_and_b32_e32 v22, v23, v25
	s_wait_loadcnt 0x0
	s_delay_alu instid0(VALU_DEP_2) | instskip(NEXT) | instid1(VALU_DEP_1)
	v_mad_co_u64_u32 v[30:31], null, v6, 24, v[32:33]
	v_mov_b32_e32 v6, v31
	s_delay_alu instid0(VALU_DEP_1) | instskip(NEXT) | instid1(VALU_DEP_1)
	v_mad_co_u64_u32 v[22:23], null, v22, 24, v[6:7]
	v_mov_b32_e32 v31, v22
	global_load_b64 v[22:23], v[30:31], off scope:SCOPE_SYS
	s_wait_loadcnt 0x0
	global_atomic_cmpswap_b64 v[30:31], v7, v[22:25], s[2:3] offset:24 th:TH_ATOMIC_RETURN scope:SCOPE_SYS
	s_wait_loadcnt 0x0
	global_inv scope:SCOPE_SYS
	v_cmp_eq_u64_e32 vcc_lo, v[30:31], v[24:25]
	s_wait_alu 0xfffe
	s_or_b32 s5, vcc_lo, s5
	s_wait_alu 0xfffe
	s_and_not1_b32 exec_lo, exec_lo, s5
	s_cbranch_execnz .LBB27_339
; %bb.340:                              ;   in Loop: Header=BB27_280 Depth=1
	s_or_b32 exec_lo, exec_lo, s5
.LBB27_341:                             ;   in Loop: Header=BB27_280 Depth=1
	s_wait_alu 0xfffe
	s_or_b32 exec_lo, exec_lo, s4
.LBB27_342:                             ;   in Loop: Header=BB27_280 Depth=1
	s_wait_alu 0xfffe
	s_or_b32 exec_lo, exec_lo, s1
	s_clause 0x1
	global_load_b64 v[32:33], v7, s[2:3] offset:40
	global_load_b128 v[22:25], v7, s[2:3]
	v_readfirstlane_b32 s5, v31
	v_readfirstlane_b32 s4, v30
	s_mov_b32 s1, exec_lo
	s_wait_loadcnt 0x1
	s_wait_alu 0xf1ff
	v_and_b32_e32 v33, s5, v33
	v_and_b32_e32 v32, s4, v32
	s_delay_alu instid0(VALU_DEP_2) | instskip(NEXT) | instid1(VALU_DEP_2)
	v_mul_lo_u32 v6, 24, v33
	v_mul_lo_u32 v30, 0, v32
	v_mul_hi_u32 v31, 24, v32
	v_mul_lo_u32 v35, 24, v32
	s_delay_alu instid0(VALU_DEP_3) | instskip(SKIP_1) | instid1(VALU_DEP_2)
	v_add_nc_u32_e32 v6, v6, v30
	s_wait_loadcnt 0x0
	v_add_co_u32 v30, vcc_lo, v22, v35
	s_delay_alu instid0(VALU_DEP_2) | instskip(SKIP_1) | instid1(VALU_DEP_1)
	v_add_nc_u32_e32 v6, v6, v31
	s_wait_alu 0xfffd
	v_add_co_ci_u32_e64 v31, null, v23, v6, vcc_lo
	s_and_saveexec_b32 s11, s0
	s_cbranch_execz .LBB27_344
; %bb.343:                              ;   in Loop: Header=BB27_280 Depth=1
	s_wait_alu 0xfffe
	v_mov_b32_e32 v6, s1
	global_store_b128 v[30:31], v[6:9], off offset:8
.LBB27_344:                             ;   in Loop: Header=BB27_280 Depth=1
	s_wait_alu 0xfffe
	s_or_b32 exec_lo, exec_lo, s11
	v_cmp_gt_u64_e32 vcc_lo, 57, v[26:27]
	v_lshlrev_b64_e32 v[32:33], 12, v[32:33]
	v_and_b32_e32 v0, 0xffffff1f, v0
	v_lshl_add_u32 v35, v28, 2, 28
	s_wait_alu 0xfffd
	v_cndmask_b32_e32 v6, 0, v34, vcc_lo
	s_delay_alu instid0(VALU_DEP_4) | instskip(SKIP_2) | instid1(VALU_DEP_3)
	v_add_co_u32 v24, vcc_lo, v24, v32
	s_wait_alu 0xfffd
	v_add_co_ci_u32_e64 v25, null, v25, v33, vcc_lo
	v_or_b32_e32 v0, v0, v6
	s_delay_alu instid0(VALU_DEP_3) | instskip(NEXT) | instid1(VALU_DEP_3)
	v_readfirstlane_b32 s12, v24
	v_readfirstlane_b32 s13, v25
	s_delay_alu instid0(VALU_DEP_3)
	v_and_or_b32 v0, 0x1e0, v35, v0
	s_clause 0x3
	global_store_b128 v36, v[0:3], s[12:13]
	global_store_b128 v36, v[10:13], s[12:13] offset:16
	global_store_b128 v36, v[14:17], s[12:13] offset:32
	;; [unrolled: 1-line block ×3, first 2 shown]
	s_and_saveexec_b32 s1, s0
	s_cbranch_execz .LBB27_352
; %bb.345:                              ;   in Loop: Header=BB27_280 Depth=1
	s_clause 0x1
	global_load_b64 v[14:15], v7, s[2:3] offset:32 scope:SCOPE_SYS
	global_load_b64 v[0:1], v7, s[2:3] offset:40
	s_mov_b32 s11, exec_lo
	v_dual_mov_b32 v12, s4 :: v_dual_mov_b32 v13, s5
	s_wait_loadcnt 0x0
	v_and_b32_e32 v0, s4, v0
	v_and_b32_e32 v1, s5, v1
	s_delay_alu instid0(VALU_DEP_2) | instskip(NEXT) | instid1(VALU_DEP_2)
	v_mul_lo_u32 v2, 0, v0
	v_mul_lo_u32 v1, 24, v1
	v_mul_hi_u32 v3, 24, v0
	v_mul_lo_u32 v0, 24, v0
	s_delay_alu instid0(VALU_DEP_3) | instskip(NEXT) | instid1(VALU_DEP_2)
	v_add_nc_u32_e32 v1, v1, v2
	v_add_co_u32 v10, vcc_lo, v22, v0
	s_delay_alu instid0(VALU_DEP_2) | instskip(SKIP_1) | instid1(VALU_DEP_1)
	v_add_nc_u32_e32 v1, v1, v3
	s_wait_alu 0xfffd
	v_add_co_ci_u32_e64 v11, null, v23, v1, vcc_lo
	global_store_b64 v[10:11], v[14:15], off
	global_wb scope:SCOPE_SYS
	s_wait_storecnt 0x0
	global_atomic_cmpswap_b64 v[2:3], v7, v[12:15], s[2:3] offset:32 th:TH_ATOMIC_RETURN scope:SCOPE_SYS
	s_wait_loadcnt 0x0
	v_cmpx_ne_u64_e64 v[2:3], v[14:15]
	s_cbranch_execz .LBB27_348
; %bb.346:                              ;   in Loop: Header=BB27_280 Depth=1
	s_mov_b32 s12, 0
.LBB27_347:                             ;   Parent Loop BB27_280 Depth=1
                                        ; =>  This Inner Loop Header: Depth=2
	v_dual_mov_b32 v0, s4 :: v_dual_mov_b32 v1, s5
	s_sleep 1
	global_store_b64 v[10:11], v[2:3], off
	global_wb scope:SCOPE_SYS
	s_wait_storecnt 0x0
	global_atomic_cmpswap_b64 v[0:1], v7, v[0:3], s[2:3] offset:32 th:TH_ATOMIC_RETURN scope:SCOPE_SYS
	s_wait_loadcnt 0x0
	v_cmp_eq_u64_e32 vcc_lo, v[0:1], v[2:3]
	v_dual_mov_b32 v3, v1 :: v_dual_mov_b32 v2, v0
	s_wait_alu 0xfffe
	s_or_b32 s12, vcc_lo, s12
	s_wait_alu 0xfffe
	s_and_not1_b32 exec_lo, exec_lo, s12
	s_cbranch_execnz .LBB27_347
.LBB27_348:                             ;   in Loop: Header=BB27_280 Depth=1
	s_wait_alu 0xfffe
	s_or_b32 exec_lo, exec_lo, s11
	global_load_b64 v[0:1], v7, s[2:3] offset:16
	s_mov_b32 s12, exec_lo
	s_mov_b32 s11, exec_lo
	s_wait_alu 0xfffe
	v_mbcnt_lo_u32_b32 v2, s12, 0
	s_delay_alu instid0(VALU_DEP_1)
	v_cmpx_eq_u32_e32 0, v2
	s_cbranch_execz .LBB27_350
; %bb.349:                              ;   in Loop: Header=BB27_280 Depth=1
	s_bcnt1_i32_b32 s12, s12
	s_wait_alu 0xfffe
	v_mov_b32_e32 v6, s12
	global_wb scope:SCOPE_SYS
	s_wait_loadcnt 0x0
	s_wait_storecnt 0x0
	global_atomic_add_u64 v[0:1], v[6:7], off offset:8 scope:SCOPE_SYS
.LBB27_350:                             ;   in Loop: Header=BB27_280 Depth=1
	s_or_b32 exec_lo, exec_lo, s11
	s_wait_loadcnt 0x0
	global_load_b64 v[2:3], v[0:1], off offset:16
	s_wait_loadcnt 0x0
	v_cmp_eq_u64_e32 vcc_lo, 0, v[2:3]
	s_cbranch_vccnz .LBB27_352
; %bb.351:                              ;   in Loop: Header=BB27_280 Depth=1
	global_load_b32 v6, v[0:1], off offset:24
	s_wait_loadcnt 0x0
	v_readfirstlane_b32 s11, v6
	global_wb scope:SCOPE_SYS
	s_wait_storecnt 0x0
	global_store_b64 v[2:3], v[6:7], off scope:SCOPE_SYS
	s_and_b32 m0, s11, 0xffffff
	s_sendmsg sendmsg(MSG_INTERRUPT)
.LBB27_352:                             ;   in Loop: Header=BB27_280 Depth=1
	s_wait_alu 0xfffe
	s_or_b32 exec_lo, exec_lo, s1
	v_add_co_u32 v0, vcc_lo, v24, v36
	s_wait_alu 0xfffd
	v_add_co_ci_u32_e64 v1, null, 0, v25, vcc_lo
	s_branch .LBB27_356
.LBB27_353:                             ;   in Loop: Header=BB27_356 Depth=2
	s_wait_alu 0xfffe
	s_or_b32 exec_lo, exec_lo, s1
	s_delay_alu instid0(VALU_DEP_1)
	v_readfirstlane_b32 s1, v2
	s_cmp_eq_u32 s1, 0
	s_cbranch_scc1 .LBB27_355
; %bb.354:                              ;   in Loop: Header=BB27_356 Depth=2
	s_sleep 1
	s_cbranch_execnz .LBB27_356
	s_branch .LBB27_358
.LBB27_355:                             ;   in Loop: Header=BB27_280 Depth=1
	s_branch .LBB27_358
.LBB27_356:                             ;   Parent Loop BB27_280 Depth=1
                                        ; =>  This Inner Loop Header: Depth=2
	v_mov_b32_e32 v2, 1
	s_and_saveexec_b32 s1, s0
	s_cbranch_execz .LBB27_353
; %bb.357:                              ;   in Loop: Header=BB27_356 Depth=2
	global_load_b32 v2, v[30:31], off offset:20 scope:SCOPE_SYS
	s_wait_loadcnt 0x0
	global_inv scope:SCOPE_SYS
	v_and_b32_e32 v2, 1, v2
	s_branch .LBB27_353
.LBB27_358:                             ;   in Loop: Header=BB27_280 Depth=1
	global_load_b64 v[0:1], v[0:1], off
	s_and_saveexec_b32 s11, s0
	s_cbranch_execz .LBB27_279
; %bb.359:                              ;   in Loop: Header=BB27_280 Depth=1
	s_clause 0x2
	global_load_b64 v[2:3], v7, s[2:3] offset:40
	global_load_b64 v[14:15], v7, s[2:3] offset:24 scope:SCOPE_SYS
	global_load_b64 v[10:11], v7, s[2:3]
	s_wait_loadcnt 0x2
	v_readfirstlane_b32 s12, v2
	v_readfirstlane_b32 s13, v3
	s_add_nc_u64 s[0:1], s[12:13], 1
	s_wait_alu 0xfffe
	s_add_nc_u64 s[4:5], s[0:1], s[4:5]
	s_wait_alu 0xfffe
	s_cmp_eq_u64 s[4:5], 0
	s_cselect_b32 s1, s1, s5
	s_cselect_b32 s0, s0, s4
	s_wait_alu 0xfffe
	v_dual_mov_b32 v13, s1 :: v_dual_mov_b32 v12, s0
	s_and_b64 s[4:5], s[0:1], s[12:13]
	s_wait_alu 0xfffe
	s_mul_u64 s[4:5], s[4:5], 24
	s_wait_loadcnt 0x0
	s_wait_alu 0xfffe
	v_add_co_u32 v2, vcc_lo, v10, s4
	s_wait_alu 0xfffd
	v_add_co_ci_u32_e64 v3, null, s5, v11, vcc_lo
	global_store_b64 v[2:3], v[14:15], off
	global_wb scope:SCOPE_SYS
	s_wait_storecnt 0x0
	global_atomic_cmpswap_b64 v[12:13], v7, v[12:15], s[2:3] offset:24 th:TH_ATOMIC_RETURN scope:SCOPE_SYS
	s_wait_loadcnt 0x0
	v_cmp_ne_u64_e32 vcc_lo, v[12:13], v[14:15]
	s_and_b32 exec_lo, exec_lo, vcc_lo
	s_cbranch_execz .LBB27_279
; %bb.360:                              ;   in Loop: Header=BB27_280 Depth=1
	s_mov_b32 s4, 0
.LBB27_361:                             ;   Parent Loop BB27_280 Depth=1
                                        ; =>  This Inner Loop Header: Depth=2
	v_dual_mov_b32 v10, s0 :: v_dual_mov_b32 v11, s1
	s_sleep 1
	global_store_b64 v[2:3], v[12:13], off
	global_wb scope:SCOPE_SYS
	s_wait_storecnt 0x0
	global_atomic_cmpswap_b64 v[10:11], v7, v[10:13], s[2:3] offset:24 th:TH_ATOMIC_RETURN scope:SCOPE_SYS
	s_wait_loadcnt 0x0
	v_cmp_eq_u64_e32 vcc_lo, v[10:11], v[12:13]
	v_dual_mov_b32 v13, v11 :: v_dual_mov_b32 v12, v10
	s_wait_alu 0xfffe
	s_or_b32 s4, vcc_lo, s4
	s_wait_alu 0xfffe
	s_and_not1_b32 exec_lo, exec_lo, s4
	s_cbranch_execnz .LBB27_361
	s_branch .LBB27_279
.LBB27_362:
	s_or_b32 exec_lo, exec_lo, s7
                                        ; implicit-def: $vgpr36
                                        ; implicit-def: $vgpr37
.LBB27_363:
	s_wait_alu 0xfffe
	s_and_not1_saveexec_b32 s6, s6
	s_cbranch_execz .LBB27_391
; %bb.364:
	v_readfirstlane_b32 s0, v37
	v_mov_b32_e32 v8, 0
	v_mov_b32_e32 v9, 0
	s_wait_alu 0xf1ff
	s_delay_alu instid0(VALU_DEP_3)
	v_cmp_eq_u32_e64 s0, s0, v37
	s_and_saveexec_b32 s1, s0
	s_cbranch_execz .LBB27_370
; %bb.365:
	v_mov_b32_e32 v2, 0
	s_mov_b32 s4, exec_lo
	global_load_b64 v[5:6], v2, s[2:3] offset:24 scope:SCOPE_SYS
	s_wait_loadcnt 0x0
	global_inv scope:SCOPE_SYS
	s_clause 0x1
	global_load_b64 v[3:4], v2, s[2:3] offset:40
	global_load_b64 v[7:8], v2, s[2:3]
	s_wait_loadcnt 0x1
	v_and_b32_e32 v4, v4, v6
	v_and_b32_e32 v3, v3, v5
	s_delay_alu instid0(VALU_DEP_2) | instskip(NEXT) | instid1(VALU_DEP_2)
	v_mul_lo_u32 v4, 24, v4
	v_mul_lo_u32 v9, 0, v3
	v_mul_hi_u32 v10, 24, v3
	v_mul_lo_u32 v3, 24, v3
	s_delay_alu instid0(VALU_DEP_3) | instskip(SKIP_1) | instid1(VALU_DEP_2)
	v_add_nc_u32_e32 v4, v4, v9
	s_wait_loadcnt 0x0
	v_add_co_u32 v3, vcc_lo, v7, v3
	s_delay_alu instid0(VALU_DEP_2) | instskip(SKIP_1) | instid1(VALU_DEP_1)
	v_add_nc_u32_e32 v4, v4, v10
	s_wait_alu 0xfffd
	v_add_co_ci_u32_e64 v4, null, v8, v4, vcc_lo
	global_load_b64 v[3:4], v[3:4], off scope:SCOPE_SYS
	s_wait_loadcnt 0x0
	global_atomic_cmpswap_b64 v[8:9], v2, v[3:6], s[2:3] offset:24 th:TH_ATOMIC_RETURN scope:SCOPE_SYS
	s_wait_loadcnt 0x0
	global_inv scope:SCOPE_SYS
	v_cmpx_ne_u64_e64 v[8:9], v[5:6]
	s_cbranch_execz .LBB27_369
; %bb.366:
	s_mov_b32 s5, 0
.LBB27_367:                             ; =>This Inner Loop Header: Depth=1
	s_sleep 1
	s_clause 0x1
	global_load_b64 v[3:4], v2, s[2:3] offset:40
	global_load_b64 v[10:11], v2, s[2:3]
	v_dual_mov_b32 v5, v8 :: v_dual_mov_b32 v6, v9
	s_wait_loadcnt 0x1
	s_delay_alu instid0(VALU_DEP_1) | instskip(NEXT) | instid1(VALU_DEP_2)
	v_and_b32_e32 v3, v3, v5
	v_and_b32_e32 v4, v4, v6
	s_wait_loadcnt 0x0
	s_delay_alu instid0(VALU_DEP_2) | instskip(NEXT) | instid1(VALU_DEP_1)
	v_mad_co_u64_u32 v[7:8], null, v3, 24, v[10:11]
	v_mov_b32_e32 v3, v8
	s_delay_alu instid0(VALU_DEP_1) | instskip(NEXT) | instid1(VALU_DEP_1)
	v_mad_co_u64_u32 v[3:4], null, v4, 24, v[3:4]
	v_mov_b32_e32 v8, v3
	global_load_b64 v[3:4], v[7:8], off scope:SCOPE_SYS
	s_wait_loadcnt 0x0
	global_atomic_cmpswap_b64 v[8:9], v2, v[3:6], s[2:3] offset:24 th:TH_ATOMIC_RETURN scope:SCOPE_SYS
	s_wait_loadcnt 0x0
	global_inv scope:SCOPE_SYS
	v_cmp_eq_u64_e32 vcc_lo, v[8:9], v[5:6]
	s_wait_alu 0xfffe
	s_or_b32 s5, vcc_lo, s5
	s_wait_alu 0xfffe
	s_and_not1_b32 exec_lo, exec_lo, s5
	s_cbranch_execnz .LBB27_367
; %bb.368:
	s_or_b32 exec_lo, exec_lo, s5
.LBB27_369:
	s_wait_alu 0xfffe
	s_or_b32 exec_lo, exec_lo, s4
.LBB27_370:
	s_wait_alu 0xfffe
	s_or_b32 exec_lo, exec_lo, s1
	v_readfirstlane_b32 s5, v9
	v_mov_b32_e32 v2, 0
	v_readfirstlane_b32 s4, v8
	s_mov_b32 s1, exec_lo
	s_clause 0x1
	global_load_b64 v[10:11], v2, s[2:3] offset:40
	global_load_b128 v[4:7], v2, s[2:3]
	s_wait_loadcnt 0x1
	s_wait_alu 0xf1ff
	v_and_b32_e32 v11, s5, v11
	v_and_b32_e32 v10, s4, v10
	s_delay_alu instid0(VALU_DEP_2) | instskip(NEXT) | instid1(VALU_DEP_2)
	v_mul_lo_u32 v3, 24, v11
	v_mul_lo_u32 v8, 0, v10
	v_mul_hi_u32 v9, 24, v10
	v_mul_lo_u32 v12, 24, v10
	s_delay_alu instid0(VALU_DEP_3) | instskip(SKIP_1) | instid1(VALU_DEP_2)
	v_add_nc_u32_e32 v3, v3, v8
	s_wait_loadcnt 0x0
	v_add_co_u32 v8, vcc_lo, v4, v12
	s_delay_alu instid0(VALU_DEP_2) | instskip(SKIP_1) | instid1(VALU_DEP_1)
	v_add_nc_u32_e32 v3, v3, v9
	s_wait_alu 0xfffd
	v_add_co_ci_u32_e64 v9, null, v5, v3, vcc_lo
	s_and_saveexec_b32 s7, s0
	s_cbranch_execz .LBB27_372
; %bb.371:
	s_wait_alu 0xfffe
	v_dual_mov_b32 v12, s1 :: v_dual_mov_b32 v13, v2
	v_dual_mov_b32 v14, 2 :: v_dual_mov_b32 v15, 1
	global_store_b128 v[8:9], v[12:15], off offset:8
.LBB27_372:
	s_wait_alu 0xfffe
	s_or_b32 exec_lo, exec_lo, s7
	v_lshlrev_b64_e32 v[10:11], 12, v[10:11]
	s_mov_b32 s12, 0
	v_and_or_b32 v0, 0xffffff1f, v0, 32
	s_wait_alu 0xfffe
	s_mov_b32 s13, s12
	s_mov_b32 s14, s12
	;; [unrolled: 1-line block ×3, first 2 shown]
	v_add_co_u32 v6, vcc_lo, v6, v10
	s_wait_alu 0xfffd
	v_add_co_ci_u32_e64 v7, null, v7, v11, vcc_lo
	v_dual_mov_b32 v3, v2 :: v_dual_mov_b32 v10, s12
	s_delay_alu instid0(VALU_DEP_3) | instskip(SKIP_1) | instid1(VALU_DEP_4)
	v_readfirstlane_b32 s10, v6
	v_add_co_u32 v6, vcc_lo, v6, v36
	v_readfirstlane_b32 s11, v7
	s_wait_alu 0xfffd
	v_add_co_ci_u32_e64 v7, null, 0, v7, vcc_lo
	s_wait_alu 0xfffe
	v_dual_mov_b32 v11, s13 :: v_dual_mov_b32 v12, s14
	v_mov_b32_e32 v13, s15
	s_clause 0x3
	global_store_b128 v36, v[0:3], s[10:11]
	global_store_b128 v36, v[10:13], s[10:11] offset:16
	global_store_b128 v36, v[10:13], s[10:11] offset:32
	;; [unrolled: 1-line block ×3, first 2 shown]
	s_and_saveexec_b32 s1, s0
	s_cbranch_execz .LBB27_380
; %bb.373:
	v_mov_b32_e32 v10, 0
	s_mov_b32 s7, exec_lo
	s_clause 0x1
	global_load_b64 v[13:14], v10, s[2:3] offset:32 scope:SCOPE_SYS
	global_load_b64 v[0:1], v10, s[2:3] offset:40
	v_dual_mov_b32 v11, s4 :: v_dual_mov_b32 v12, s5
	s_wait_loadcnt 0x0
	v_and_b32_e32 v1, s5, v1
	v_and_b32_e32 v0, s4, v0
	s_delay_alu instid0(VALU_DEP_2) | instskip(NEXT) | instid1(VALU_DEP_2)
	v_mul_lo_u32 v1, 24, v1
	v_mul_lo_u32 v2, 0, v0
	v_mul_hi_u32 v3, 24, v0
	v_mul_lo_u32 v0, 24, v0
	s_delay_alu instid0(VALU_DEP_3) | instskip(NEXT) | instid1(VALU_DEP_2)
	v_add_nc_u32_e32 v1, v1, v2
	v_add_co_u32 v4, vcc_lo, v4, v0
	s_delay_alu instid0(VALU_DEP_2) | instskip(SKIP_1) | instid1(VALU_DEP_1)
	v_add_nc_u32_e32 v1, v1, v3
	s_wait_alu 0xfffd
	v_add_co_ci_u32_e64 v5, null, v5, v1, vcc_lo
	global_store_b64 v[4:5], v[13:14], off
	global_wb scope:SCOPE_SYS
	s_wait_storecnt 0x0
	global_atomic_cmpswap_b64 v[2:3], v10, v[11:14], s[2:3] offset:32 th:TH_ATOMIC_RETURN scope:SCOPE_SYS
	s_wait_loadcnt 0x0
	v_cmpx_ne_u64_e64 v[2:3], v[13:14]
	s_cbranch_execz .LBB27_376
; %bb.374:
	s_mov_b32 s10, 0
.LBB27_375:                             ; =>This Inner Loop Header: Depth=1
	v_dual_mov_b32 v0, s4 :: v_dual_mov_b32 v1, s5
	s_sleep 1
	global_store_b64 v[4:5], v[2:3], off
	global_wb scope:SCOPE_SYS
	s_wait_storecnt 0x0
	global_atomic_cmpswap_b64 v[0:1], v10, v[0:3], s[2:3] offset:32 th:TH_ATOMIC_RETURN scope:SCOPE_SYS
	s_wait_loadcnt 0x0
	v_cmp_eq_u64_e32 vcc_lo, v[0:1], v[2:3]
	v_dual_mov_b32 v3, v1 :: v_dual_mov_b32 v2, v0
	s_wait_alu 0xfffe
	s_or_b32 s10, vcc_lo, s10
	s_wait_alu 0xfffe
	s_and_not1_b32 exec_lo, exec_lo, s10
	s_cbranch_execnz .LBB27_375
.LBB27_376:
	s_wait_alu 0xfffe
	s_or_b32 exec_lo, exec_lo, s7
	v_mov_b32_e32 v3, 0
	s_mov_b32 s10, exec_lo
	s_mov_b32 s7, exec_lo
	s_wait_alu 0xfffe
	v_mbcnt_lo_u32_b32 v2, s10, 0
	global_load_b64 v[0:1], v3, s[2:3] offset:16
	v_cmpx_eq_u32_e32 0, v2
	s_cbranch_execz .LBB27_378
; %bb.377:
	s_bcnt1_i32_b32 s10, s10
	s_wait_alu 0xfffe
	v_mov_b32_e32 v2, s10
	global_wb scope:SCOPE_SYS
	s_wait_loadcnt 0x0
	s_wait_storecnt 0x0
	global_atomic_add_u64 v[0:1], v[2:3], off offset:8 scope:SCOPE_SYS
.LBB27_378:
	s_or_b32 exec_lo, exec_lo, s7
	s_wait_loadcnt 0x0
	global_load_b64 v[2:3], v[0:1], off offset:16
	s_wait_loadcnt 0x0
	v_cmp_eq_u64_e32 vcc_lo, 0, v[2:3]
	s_cbranch_vccnz .LBB27_380
; %bb.379:
	global_load_b32 v0, v[0:1], off offset:24
	v_mov_b32_e32 v1, 0
	s_wait_loadcnt 0x0
	v_readfirstlane_b32 s7, v0
	global_wb scope:SCOPE_SYS
	s_wait_storecnt 0x0
	global_store_b64 v[2:3], v[0:1], off scope:SCOPE_SYS
	s_and_b32 m0, s7, 0xffffff
	s_sendmsg sendmsg(MSG_INTERRUPT)
.LBB27_380:
	s_wait_alu 0xfffe
	s_or_b32 exec_lo, exec_lo, s1
	s_branch .LBB27_384
.LBB27_381:                             ;   in Loop: Header=BB27_384 Depth=1
	s_wait_alu 0xfffe
	s_or_b32 exec_lo, exec_lo, s1
	s_delay_alu instid0(VALU_DEP_1)
	v_readfirstlane_b32 s1, v0
	s_cmp_eq_u32 s1, 0
	s_cbranch_scc1 .LBB27_383
; %bb.382:                              ;   in Loop: Header=BB27_384 Depth=1
	s_sleep 1
	s_cbranch_execnz .LBB27_384
	s_branch .LBB27_386
.LBB27_383:
	s_branch .LBB27_386
.LBB27_384:                             ; =>This Inner Loop Header: Depth=1
	v_mov_b32_e32 v0, 1
	s_and_saveexec_b32 s1, s0
	s_cbranch_execz .LBB27_381
; %bb.385:                              ;   in Loop: Header=BB27_384 Depth=1
	global_load_b32 v0, v[8:9], off offset:20 scope:SCOPE_SYS
	s_wait_loadcnt 0x0
	global_inv scope:SCOPE_SYS
	v_and_b32_e32 v0, 1, v0
	s_branch .LBB27_381
.LBB27_386:
	global_load_b64 v[0:1], v[6:7], off
	s_and_saveexec_b32 s7, s0
	s_cbranch_execz .LBB27_390
; %bb.387:
	v_mov_b32_e32 v8, 0
	s_clause 0x2
	global_load_b64 v[2:3], v8, s[2:3] offset:40
	global_load_b64 v[11:12], v8, s[2:3] offset:24 scope:SCOPE_SYS
	global_load_b64 v[4:5], v8, s[2:3]
	s_wait_loadcnt 0x2
	v_readfirstlane_b32 s10, v2
	v_readfirstlane_b32 s11, v3
	s_add_nc_u64 s[0:1], s[10:11], 1
	s_wait_alu 0xfffe
	s_add_nc_u64 s[4:5], s[0:1], s[4:5]
	s_wait_alu 0xfffe
	s_cmp_eq_u64 s[4:5], 0
	s_cselect_b32 s1, s1, s5
	s_cselect_b32 s0, s0, s4
	s_wait_alu 0xfffe
	v_mov_b32_e32 v10, s1
	s_and_b64 s[4:5], s[0:1], s[10:11]
	v_mov_b32_e32 v9, s0
	s_wait_alu 0xfffe
	s_mul_u64 s[4:5], s[4:5], 24
	s_wait_loadcnt 0x0
	s_wait_alu 0xfffe
	v_add_co_u32 v6, vcc_lo, v4, s4
	s_wait_alu 0xfffd
	v_add_co_ci_u32_e64 v7, null, s5, v5, vcc_lo
	global_store_b64 v[6:7], v[11:12], off
	global_wb scope:SCOPE_SYS
	s_wait_storecnt 0x0
	global_atomic_cmpswap_b64 v[4:5], v8, v[9:12], s[2:3] offset:24 th:TH_ATOMIC_RETURN scope:SCOPE_SYS
	s_wait_loadcnt 0x0
	v_cmp_ne_u64_e32 vcc_lo, v[4:5], v[11:12]
	s_and_b32 exec_lo, exec_lo, vcc_lo
	s_cbranch_execz .LBB27_390
; %bb.388:
	s_mov_b32 s4, 0
.LBB27_389:                             ; =>This Inner Loop Header: Depth=1
	v_dual_mov_b32 v2, s0 :: v_dual_mov_b32 v3, s1
	s_sleep 1
	global_store_b64 v[6:7], v[4:5], off
	global_wb scope:SCOPE_SYS
	s_wait_storecnt 0x0
	global_atomic_cmpswap_b64 v[2:3], v8, v[2:5], s[2:3] offset:24 th:TH_ATOMIC_RETURN scope:SCOPE_SYS
	s_wait_loadcnt 0x0
	v_cmp_eq_u64_e32 vcc_lo, v[2:3], v[4:5]
	v_dual_mov_b32 v5, v3 :: v_dual_mov_b32 v4, v2
	s_wait_alu 0xfffe
	s_or_b32 s4, vcc_lo, s4
	s_wait_alu 0xfffe
	s_and_not1_b32 exec_lo, exec_lo, s4
	s_cbranch_execnz .LBB27_389
.LBB27_390:
	s_wait_alu 0xfffe
	s_or_b32 exec_lo, exec_lo, s7
.LBB27_391:
	s_wait_alu 0xfffe
	s_or_b32 exec_lo, exec_lo, s6
	s_getpc_b64 s[0:1]
	s_wait_alu 0xfffe
	s_sext_i32_i16 s1, s1
	s_add_co_u32 s0, s0, .str@rel32@lo+12
	s_wait_alu 0xfffe
	s_add_co_ci_u32 s1, s1, .str@rel32@hi+24
	s_getpc_b64 s[2:3]
	s_wait_alu 0xfffe
	s_sext_i32_i16 s3, s3
	s_add_co_u32 s2, s2, .str@rel32@lo+18
	s_wait_alu 0xfffe
	s_add_co_ci_u32 s3, s3, .str@rel32@hi+30
	s_sub_co_i32 s4, s2, s0
	s_getpc_b64 s[2:3]
	s_wait_alu 0xfffe
	s_sext_i32_i16 s3, s3
	s_add_co_u32 s2, s2, __ockl_fprintf_append_string_n@rel32@lo+12
	s_wait_alu 0xfffe
	s_add_co_ci_u32 s3, s3, __ockl_fprintf_append_string_n@rel32@hi+24
	s_ashr_i32 s5, s4, 31
	v_dual_mov_b32 v2, s0 :: v_dual_mov_b32 v3, s1
	s_wait_alu 0xfffe
	v_dual_mov_b32 v4, s4 :: v_dual_mov_b32 v5, s5
	v_mov_b32_e32 v6, 1
	s_swappc_b64 s[30:31], s[2:3]
	s_trap 2
.Lfunc_end27:
	.size	__assert_fail, .Lfunc_end27-__assert_fail
                                        ; -- End function
	.set .L__assert_fail.num_vgpr, max(49, .L__ockl_fprintf_append_string_n.num_vgpr)
	.set .L__assert_fail.num_agpr, max(0, .L__ockl_fprintf_append_string_n.num_agpr)
	.set .L__assert_fail.numbered_sgpr, max(34, .L__ockl_fprintf_append_string_n.numbered_sgpr)
	.set .L__assert_fail.num_named_barrier, max(0, .L__ockl_fprintf_append_string_n.num_named_barrier)
	.set .L__assert_fail.private_seg_size, 64+max(.L__ockl_fprintf_append_string_n.private_seg_size)
	.set .L__assert_fail.uses_vcc, or(1, .L__ockl_fprintf_append_string_n.uses_vcc)
	.set .L__assert_fail.uses_flat_scratch, or(1, .L__ockl_fprintf_append_string_n.uses_flat_scratch)
	.set .L__assert_fail.has_dyn_sized_stack, or(0, .L__ockl_fprintf_append_string_n.has_dyn_sized_stack)
	.set .L__assert_fail.has_recursion, or(0, .L__ockl_fprintf_append_string_n.has_recursion)
	.set .L__assert_fail.has_indirect_call, or(0, .L__ockl_fprintf_append_string_n.has_indirect_call)
	.section	.AMDGPU.csdata,"",@progbits
; Function info:
; codeLenInByte = 18504
; TotalNumSgprs: 36
; NumVgprs: 49
; ScratchSize: 64
; MemoryBound: 0
	.section	.text._ZN4vllm18convert_fp8_kernelIhfLNS_18Fp8KVCacheDataTypeE0EEEvPKT0_PT_fl,"axG",@progbits,_ZN4vllm18convert_fp8_kernelIhfLNS_18Fp8KVCacheDataTypeE0EEEvPKT0_PT_fl,comdat
	.protected	_ZN4vllm18convert_fp8_kernelIhfLNS_18Fp8KVCacheDataTypeE0EEEvPKT0_PT_fl ; -- Begin function _ZN4vllm18convert_fp8_kernelIhfLNS_18Fp8KVCacheDataTypeE0EEEvPKT0_PT_fl
	.globl	_ZN4vllm18convert_fp8_kernelIhfLNS_18Fp8KVCacheDataTypeE0EEEvPKT0_PT_fl
	.p2align	8
	.type	_ZN4vllm18convert_fp8_kernelIhfLNS_18Fp8KVCacheDataTypeE0EEEvPKT0_PT_fl,@function
_ZN4vllm18convert_fp8_kernelIhfLNS_18Fp8KVCacheDataTypeE0EEEvPKT0_PT_fl: ; @_ZN4vllm18convert_fp8_kernelIhfLNS_18Fp8KVCacheDataTypeE0EEEvPKT0_PT_fl
; %bb.0:
	s_load_b64 s[2:3], s[0:1], 0x18
	v_mov_b32_e32 v1, 0
	s_mov_b32 s32, 0
	s_wait_kmcnt 0x0
	s_delay_alu instid0(VALU_DEP_1)
	v_cmp_gt_i64_e32 vcc_lo, s[2:3], v[0:1]
	s_and_saveexec_b32 s2, vcc_lo
	s_cbranch_execz .LBB28_2
; %bb.1:
	s_getpc_b64 s[2:3]
	s_wait_alu 0xfffe
	s_sext_i32_i16 s3, s3
	s_add_co_u32 s2, s2, __PRETTY_FUNCTION__._ZN4vllm3fp814scaled_convertIhfLNS_18Fp8KVCacheDataTypeE0EEET_RKT0_f@rel32@lo+12
	s_wait_alu 0xfffe
	s_add_co_ci_u32 s3, s3, __PRETTY_FUNCTION__._ZN4vllm3fp814scaled_convertIhfLNS_18Fp8KVCacheDataTypeE0EEET_RKT0_f@rel32@hi+24
	s_wait_alu 0xfffe
	v_dual_mov_b32 v0, s2 :: v_dual_mov_b32 v1, s3
	s_add_nc_u64 s[8:9], s[0:1], 32
	s_getpc_b64 s[0:1]
	s_sext_i32_i16 s1, s1
	s_add_co_u32 s0, s0, __assert_fail@rel32@lo+8
	s_add_co_ci_u32 s1, s1, __assert_fail@rel32@hi+16
	s_delay_alu instid0(SALU_CYCLE_1)
	s_swappc_b64 s[30:31], s[0:1]
	; divergent unreachable
.LBB28_2:
	s_endpgm
	.section	.rodata,"a",@progbits
	.p2align	6, 0x0
	.amdhsa_kernel _ZN4vllm18convert_fp8_kernelIhfLNS_18Fp8KVCacheDataTypeE0EEEvPKT0_PT_fl
		.amdhsa_group_segment_fixed_size 0
		.amdhsa_private_segment_fixed_size 64
		.amdhsa_kernarg_size 288
		.amdhsa_user_sgpr_count 2
		.amdhsa_user_sgpr_dispatch_ptr 0
		.amdhsa_user_sgpr_queue_ptr 0
		.amdhsa_user_sgpr_kernarg_segment_ptr 1
		.amdhsa_user_sgpr_dispatch_id 0
		.amdhsa_user_sgpr_private_segment_size 0
		.amdhsa_wavefront_size32 1
		.amdhsa_uses_dynamic_stack 0
		.amdhsa_enable_private_segment 1
		.amdhsa_system_sgpr_workgroup_id_x 1
		.amdhsa_system_sgpr_workgroup_id_y 0
		.amdhsa_system_sgpr_workgroup_id_z 0
		.amdhsa_system_sgpr_workgroup_info 0
		.amdhsa_system_vgpr_workitem_id 0
		.amdhsa_next_free_vgpr 49
		.amdhsa_next_free_sgpr 34
		.amdhsa_reserve_vcc 1
		.amdhsa_float_round_mode_32 0
		.amdhsa_float_round_mode_16_64 0
		.amdhsa_float_denorm_mode_32 3
		.amdhsa_float_denorm_mode_16_64 3
		.amdhsa_fp16_overflow 0
		.amdhsa_workgroup_processor_mode 1
		.amdhsa_memory_ordered 1
		.amdhsa_forward_progress 1
		.amdhsa_inst_pref_size 1
		.amdhsa_round_robin_scheduling 0
		.amdhsa_exception_fp_ieee_invalid_op 0
		.amdhsa_exception_fp_denorm_src 0
		.amdhsa_exception_fp_ieee_div_zero 0
		.amdhsa_exception_fp_ieee_overflow 0
		.amdhsa_exception_fp_ieee_underflow 0
		.amdhsa_exception_fp_ieee_inexact 0
		.amdhsa_exception_int_div_zero 0
	.end_amdhsa_kernel
	.section	.text._ZN4vllm18convert_fp8_kernelIhfLNS_18Fp8KVCacheDataTypeE0EEEvPKT0_PT_fl,"axG",@progbits,_ZN4vllm18convert_fp8_kernelIhfLNS_18Fp8KVCacheDataTypeE0EEEvPKT0_PT_fl,comdat
.Lfunc_end28:
	.size	_ZN4vllm18convert_fp8_kernelIhfLNS_18Fp8KVCacheDataTypeE0EEEvPKT0_PT_fl, .Lfunc_end28-_ZN4vllm18convert_fp8_kernelIhfLNS_18Fp8KVCacheDataTypeE0EEEvPKT0_PT_fl
                                        ; -- End function
	.set _ZN4vllm18convert_fp8_kernelIhfLNS_18Fp8KVCacheDataTypeE0EEEvPKT0_PT_fl.num_vgpr, max(2, .L__assert_fail.num_vgpr)
	.set _ZN4vllm18convert_fp8_kernelIhfLNS_18Fp8KVCacheDataTypeE0EEEvPKT0_PT_fl.num_agpr, max(0, .L__assert_fail.num_agpr)
	.set _ZN4vllm18convert_fp8_kernelIhfLNS_18Fp8KVCacheDataTypeE0EEEvPKT0_PT_fl.numbered_sgpr, max(33, .L__assert_fail.numbered_sgpr)
	.set _ZN4vllm18convert_fp8_kernelIhfLNS_18Fp8KVCacheDataTypeE0EEEvPKT0_PT_fl.num_named_barrier, max(0, .L__assert_fail.num_named_barrier)
	.set _ZN4vllm18convert_fp8_kernelIhfLNS_18Fp8KVCacheDataTypeE0EEEvPKT0_PT_fl.private_seg_size, 0+max(.L__assert_fail.private_seg_size)
	.set _ZN4vllm18convert_fp8_kernelIhfLNS_18Fp8KVCacheDataTypeE0EEEvPKT0_PT_fl.uses_vcc, or(1, .L__assert_fail.uses_vcc)
	.set _ZN4vllm18convert_fp8_kernelIhfLNS_18Fp8KVCacheDataTypeE0EEEvPKT0_PT_fl.uses_flat_scratch, or(0, .L__assert_fail.uses_flat_scratch)
	.set _ZN4vllm18convert_fp8_kernelIhfLNS_18Fp8KVCacheDataTypeE0EEEvPKT0_PT_fl.has_dyn_sized_stack, or(0, .L__assert_fail.has_dyn_sized_stack)
	.set _ZN4vllm18convert_fp8_kernelIhfLNS_18Fp8KVCacheDataTypeE0EEEvPKT0_PT_fl.has_recursion, or(0, .L__assert_fail.has_recursion)
	.set _ZN4vllm18convert_fp8_kernelIhfLNS_18Fp8KVCacheDataTypeE0EEEvPKT0_PT_fl.has_indirect_call, or(0, .L__assert_fail.has_indirect_call)
	.section	.AMDGPU.csdata,"",@progbits
; Kernel info:
; codeLenInByte = 120
; TotalNumSgprs: 36
; NumVgprs: 49
; ScratchSize: 64
; MemoryBound: 0
; FloatMode: 240
; IeeeMode: 1
; LDSByteSize: 0 bytes/workgroup (compile time only)
; SGPRBlocks: 0
; VGPRBlocks: 6
; NumSGPRsForWavesPerEU: 36
; NumVGPRsForWavesPerEU: 49
; Occupancy: 16
; WaveLimiterHint : 1
; COMPUTE_PGM_RSRC2:SCRATCH_EN: 1
; COMPUTE_PGM_RSRC2:USER_SGPR: 2
; COMPUTE_PGM_RSRC2:TRAP_HANDLER: 0
; COMPUTE_PGM_RSRC2:TGID_X_EN: 1
; COMPUTE_PGM_RSRC2:TGID_Y_EN: 0
; COMPUTE_PGM_RSRC2:TGID_Z_EN: 0
; COMPUTE_PGM_RSRC2:TIDIG_COMP_CNT: 0
	.section	.text._ZN4vllm18convert_fp8_kernelIhtLNS_18Fp8KVCacheDataTypeE0EEEvPKT0_PT_fl,"axG",@progbits,_ZN4vllm18convert_fp8_kernelIhtLNS_18Fp8KVCacheDataTypeE0EEEvPKT0_PT_fl,comdat
	.protected	_ZN4vllm18convert_fp8_kernelIhtLNS_18Fp8KVCacheDataTypeE0EEEvPKT0_PT_fl ; -- Begin function _ZN4vllm18convert_fp8_kernelIhtLNS_18Fp8KVCacheDataTypeE0EEEvPKT0_PT_fl
	.globl	_ZN4vllm18convert_fp8_kernelIhtLNS_18Fp8KVCacheDataTypeE0EEEvPKT0_PT_fl
	.p2align	8
	.type	_ZN4vllm18convert_fp8_kernelIhtLNS_18Fp8KVCacheDataTypeE0EEEvPKT0_PT_fl,@function
_ZN4vllm18convert_fp8_kernelIhtLNS_18Fp8KVCacheDataTypeE0EEEvPKT0_PT_fl: ; @_ZN4vllm18convert_fp8_kernelIhtLNS_18Fp8KVCacheDataTypeE0EEEvPKT0_PT_fl
; %bb.0:
	s_load_b64 s[2:3], s[0:1], 0x18
	v_mov_b32_e32 v1, 0
	s_mov_b32 s32, 0
	s_wait_kmcnt 0x0
	s_delay_alu instid0(VALU_DEP_1)
	v_cmp_gt_i64_e32 vcc_lo, s[2:3], v[0:1]
	s_and_saveexec_b32 s2, vcc_lo
	s_cbranch_execz .LBB29_2
; %bb.1:
	s_getpc_b64 s[2:3]
	s_wait_alu 0xfffe
	s_sext_i32_i16 s3, s3
	s_add_co_u32 s2, s2, __PRETTY_FUNCTION__._ZN4vllm3fp814scaled_convertIhtLNS_18Fp8KVCacheDataTypeE0EEET_RKT0_f@rel32@lo+12
	s_wait_alu 0xfffe
	s_add_co_ci_u32 s3, s3, __PRETTY_FUNCTION__._ZN4vllm3fp814scaled_convertIhtLNS_18Fp8KVCacheDataTypeE0EEET_RKT0_f@rel32@hi+24
	s_wait_alu 0xfffe
	v_dual_mov_b32 v0, s2 :: v_dual_mov_b32 v1, s3
	s_add_nc_u64 s[8:9], s[0:1], 32
	s_getpc_b64 s[0:1]
	s_sext_i32_i16 s1, s1
	s_add_co_u32 s0, s0, __assert_fail@rel32@lo+8
	s_add_co_ci_u32 s1, s1, __assert_fail@rel32@hi+16
	s_delay_alu instid0(SALU_CYCLE_1)
	s_swappc_b64 s[30:31], s[0:1]
	; divergent unreachable
.LBB29_2:
	s_endpgm
	.section	.rodata,"a",@progbits
	.p2align	6, 0x0
	.amdhsa_kernel _ZN4vllm18convert_fp8_kernelIhtLNS_18Fp8KVCacheDataTypeE0EEEvPKT0_PT_fl
		.amdhsa_group_segment_fixed_size 0
		.amdhsa_private_segment_fixed_size 64
		.amdhsa_kernarg_size 288
		.amdhsa_user_sgpr_count 2
		.amdhsa_user_sgpr_dispatch_ptr 0
		.amdhsa_user_sgpr_queue_ptr 0
		.amdhsa_user_sgpr_kernarg_segment_ptr 1
		.amdhsa_user_sgpr_dispatch_id 0
		.amdhsa_user_sgpr_private_segment_size 0
		.amdhsa_wavefront_size32 1
		.amdhsa_uses_dynamic_stack 0
		.amdhsa_enable_private_segment 1
		.amdhsa_system_sgpr_workgroup_id_x 1
		.amdhsa_system_sgpr_workgroup_id_y 0
		.amdhsa_system_sgpr_workgroup_id_z 0
		.amdhsa_system_sgpr_workgroup_info 0
		.amdhsa_system_vgpr_workitem_id 0
		.amdhsa_next_free_vgpr 49
		.amdhsa_next_free_sgpr 34
		.amdhsa_reserve_vcc 1
		.amdhsa_float_round_mode_32 0
		.amdhsa_float_round_mode_16_64 0
		.amdhsa_float_denorm_mode_32 3
		.amdhsa_float_denorm_mode_16_64 3
		.amdhsa_fp16_overflow 0
		.amdhsa_workgroup_processor_mode 1
		.amdhsa_memory_ordered 1
		.amdhsa_forward_progress 1
		.amdhsa_inst_pref_size 1
		.amdhsa_round_robin_scheduling 0
		.amdhsa_exception_fp_ieee_invalid_op 0
		.amdhsa_exception_fp_denorm_src 0
		.amdhsa_exception_fp_ieee_div_zero 0
		.amdhsa_exception_fp_ieee_overflow 0
		.amdhsa_exception_fp_ieee_underflow 0
		.amdhsa_exception_fp_ieee_inexact 0
		.amdhsa_exception_int_div_zero 0
	.end_amdhsa_kernel
	.section	.text._ZN4vllm18convert_fp8_kernelIhtLNS_18Fp8KVCacheDataTypeE0EEEvPKT0_PT_fl,"axG",@progbits,_ZN4vllm18convert_fp8_kernelIhtLNS_18Fp8KVCacheDataTypeE0EEEvPKT0_PT_fl,comdat
.Lfunc_end29:
	.size	_ZN4vllm18convert_fp8_kernelIhtLNS_18Fp8KVCacheDataTypeE0EEEvPKT0_PT_fl, .Lfunc_end29-_ZN4vllm18convert_fp8_kernelIhtLNS_18Fp8KVCacheDataTypeE0EEEvPKT0_PT_fl
                                        ; -- End function
	.set _ZN4vllm18convert_fp8_kernelIhtLNS_18Fp8KVCacheDataTypeE0EEEvPKT0_PT_fl.num_vgpr, max(2, .L__assert_fail.num_vgpr)
	.set _ZN4vllm18convert_fp8_kernelIhtLNS_18Fp8KVCacheDataTypeE0EEEvPKT0_PT_fl.num_agpr, max(0, .L__assert_fail.num_agpr)
	.set _ZN4vllm18convert_fp8_kernelIhtLNS_18Fp8KVCacheDataTypeE0EEEvPKT0_PT_fl.numbered_sgpr, max(33, .L__assert_fail.numbered_sgpr)
	.set _ZN4vllm18convert_fp8_kernelIhtLNS_18Fp8KVCacheDataTypeE0EEEvPKT0_PT_fl.num_named_barrier, max(0, .L__assert_fail.num_named_barrier)
	.set _ZN4vllm18convert_fp8_kernelIhtLNS_18Fp8KVCacheDataTypeE0EEEvPKT0_PT_fl.private_seg_size, 0+max(.L__assert_fail.private_seg_size)
	.set _ZN4vllm18convert_fp8_kernelIhtLNS_18Fp8KVCacheDataTypeE0EEEvPKT0_PT_fl.uses_vcc, or(1, .L__assert_fail.uses_vcc)
	.set _ZN4vllm18convert_fp8_kernelIhtLNS_18Fp8KVCacheDataTypeE0EEEvPKT0_PT_fl.uses_flat_scratch, or(0, .L__assert_fail.uses_flat_scratch)
	.set _ZN4vllm18convert_fp8_kernelIhtLNS_18Fp8KVCacheDataTypeE0EEEvPKT0_PT_fl.has_dyn_sized_stack, or(0, .L__assert_fail.has_dyn_sized_stack)
	.set _ZN4vllm18convert_fp8_kernelIhtLNS_18Fp8KVCacheDataTypeE0EEEvPKT0_PT_fl.has_recursion, or(0, .L__assert_fail.has_recursion)
	.set _ZN4vllm18convert_fp8_kernelIhtLNS_18Fp8KVCacheDataTypeE0EEEvPKT0_PT_fl.has_indirect_call, or(0, .L__assert_fail.has_indirect_call)
	.section	.AMDGPU.csdata,"",@progbits
; Kernel info:
; codeLenInByte = 120
; TotalNumSgprs: 36
; NumVgprs: 49
; ScratchSize: 64
; MemoryBound: 0
; FloatMode: 240
; IeeeMode: 1
; LDSByteSize: 0 bytes/workgroup (compile time only)
; SGPRBlocks: 0
; VGPRBlocks: 6
; NumSGPRsForWavesPerEU: 36
; NumVGPRsForWavesPerEU: 49
; Occupancy: 16
; WaveLimiterHint : 1
; COMPUTE_PGM_RSRC2:SCRATCH_EN: 1
; COMPUTE_PGM_RSRC2:USER_SGPR: 2
; COMPUTE_PGM_RSRC2:TRAP_HANDLER: 0
; COMPUTE_PGM_RSRC2:TGID_X_EN: 1
; COMPUTE_PGM_RSRC2:TGID_Y_EN: 0
; COMPUTE_PGM_RSRC2:TGID_Z_EN: 0
; COMPUTE_PGM_RSRC2:TIDIG_COMP_CNT: 0
	.section	.text._ZN4vllm18convert_fp8_kernelIh14__hip_bfloat16LNS_18Fp8KVCacheDataTypeE0EEEvPKT0_PT_fl,"axG",@progbits,_ZN4vllm18convert_fp8_kernelIh14__hip_bfloat16LNS_18Fp8KVCacheDataTypeE0EEEvPKT0_PT_fl,comdat
	.protected	_ZN4vllm18convert_fp8_kernelIh14__hip_bfloat16LNS_18Fp8KVCacheDataTypeE0EEEvPKT0_PT_fl ; -- Begin function _ZN4vllm18convert_fp8_kernelIh14__hip_bfloat16LNS_18Fp8KVCacheDataTypeE0EEEvPKT0_PT_fl
	.globl	_ZN4vllm18convert_fp8_kernelIh14__hip_bfloat16LNS_18Fp8KVCacheDataTypeE0EEEvPKT0_PT_fl
	.p2align	8
	.type	_ZN4vllm18convert_fp8_kernelIh14__hip_bfloat16LNS_18Fp8KVCacheDataTypeE0EEEvPKT0_PT_fl,@function
_ZN4vllm18convert_fp8_kernelIh14__hip_bfloat16LNS_18Fp8KVCacheDataTypeE0EEEvPKT0_PT_fl: ; @_ZN4vllm18convert_fp8_kernelIh14__hip_bfloat16LNS_18Fp8KVCacheDataTypeE0EEEvPKT0_PT_fl
; %bb.0:
	s_load_b64 s[2:3], s[0:1], 0x18
	v_mov_b32_e32 v1, 0
	s_mov_b32 s32, 0
	s_wait_kmcnt 0x0
	s_delay_alu instid0(VALU_DEP_1)
	v_cmp_gt_i64_e32 vcc_lo, s[2:3], v[0:1]
	s_and_saveexec_b32 s2, vcc_lo
	s_cbranch_execz .LBB30_2
; %bb.1:
	s_getpc_b64 s[2:3]
	s_wait_alu 0xfffe
	s_sext_i32_i16 s3, s3
	s_add_co_u32 s2, s2, __PRETTY_FUNCTION__._ZN4vllm3fp814scaled_convertIh14__hip_bfloat16LNS_18Fp8KVCacheDataTypeE0EEET_RKT0_f@rel32@lo+12
	s_wait_alu 0xfffe
	s_add_co_ci_u32 s3, s3, __PRETTY_FUNCTION__._ZN4vllm3fp814scaled_convertIh14__hip_bfloat16LNS_18Fp8KVCacheDataTypeE0EEET_RKT0_f@rel32@hi+24
	s_wait_alu 0xfffe
	v_dual_mov_b32 v0, s2 :: v_dual_mov_b32 v1, s3
	s_add_nc_u64 s[8:9], s[0:1], 32
	s_getpc_b64 s[0:1]
	s_sext_i32_i16 s1, s1
	s_add_co_u32 s0, s0, __assert_fail@rel32@lo+8
	s_add_co_ci_u32 s1, s1, __assert_fail@rel32@hi+16
	s_delay_alu instid0(SALU_CYCLE_1)
	s_swappc_b64 s[30:31], s[0:1]
	; divergent unreachable
.LBB30_2:
	s_endpgm
	.section	.rodata,"a",@progbits
	.p2align	6, 0x0
	.amdhsa_kernel _ZN4vllm18convert_fp8_kernelIh14__hip_bfloat16LNS_18Fp8KVCacheDataTypeE0EEEvPKT0_PT_fl
		.amdhsa_group_segment_fixed_size 0
		.amdhsa_private_segment_fixed_size 64
		.amdhsa_kernarg_size 288
		.amdhsa_user_sgpr_count 2
		.amdhsa_user_sgpr_dispatch_ptr 0
		.amdhsa_user_sgpr_queue_ptr 0
		.amdhsa_user_sgpr_kernarg_segment_ptr 1
		.amdhsa_user_sgpr_dispatch_id 0
		.amdhsa_user_sgpr_private_segment_size 0
		.amdhsa_wavefront_size32 1
		.amdhsa_uses_dynamic_stack 0
		.amdhsa_enable_private_segment 1
		.amdhsa_system_sgpr_workgroup_id_x 1
		.amdhsa_system_sgpr_workgroup_id_y 0
		.amdhsa_system_sgpr_workgroup_id_z 0
		.amdhsa_system_sgpr_workgroup_info 0
		.amdhsa_system_vgpr_workitem_id 0
		.amdhsa_next_free_vgpr 49
		.amdhsa_next_free_sgpr 34
		.amdhsa_reserve_vcc 1
		.amdhsa_float_round_mode_32 0
		.amdhsa_float_round_mode_16_64 0
		.amdhsa_float_denorm_mode_32 3
		.amdhsa_float_denorm_mode_16_64 3
		.amdhsa_fp16_overflow 0
		.amdhsa_workgroup_processor_mode 1
		.amdhsa_memory_ordered 1
		.amdhsa_forward_progress 1
		.amdhsa_inst_pref_size 1
		.amdhsa_round_robin_scheduling 0
		.amdhsa_exception_fp_ieee_invalid_op 0
		.amdhsa_exception_fp_denorm_src 0
		.amdhsa_exception_fp_ieee_div_zero 0
		.amdhsa_exception_fp_ieee_overflow 0
		.amdhsa_exception_fp_ieee_underflow 0
		.amdhsa_exception_fp_ieee_inexact 0
		.amdhsa_exception_int_div_zero 0
	.end_amdhsa_kernel
	.section	.text._ZN4vllm18convert_fp8_kernelIh14__hip_bfloat16LNS_18Fp8KVCacheDataTypeE0EEEvPKT0_PT_fl,"axG",@progbits,_ZN4vllm18convert_fp8_kernelIh14__hip_bfloat16LNS_18Fp8KVCacheDataTypeE0EEEvPKT0_PT_fl,comdat
.Lfunc_end30:
	.size	_ZN4vllm18convert_fp8_kernelIh14__hip_bfloat16LNS_18Fp8KVCacheDataTypeE0EEEvPKT0_PT_fl, .Lfunc_end30-_ZN4vllm18convert_fp8_kernelIh14__hip_bfloat16LNS_18Fp8KVCacheDataTypeE0EEEvPKT0_PT_fl
                                        ; -- End function
	.set _ZN4vllm18convert_fp8_kernelIh14__hip_bfloat16LNS_18Fp8KVCacheDataTypeE0EEEvPKT0_PT_fl.num_vgpr, max(2, .L__assert_fail.num_vgpr)
	.set _ZN4vllm18convert_fp8_kernelIh14__hip_bfloat16LNS_18Fp8KVCacheDataTypeE0EEEvPKT0_PT_fl.num_agpr, max(0, .L__assert_fail.num_agpr)
	.set _ZN4vllm18convert_fp8_kernelIh14__hip_bfloat16LNS_18Fp8KVCacheDataTypeE0EEEvPKT0_PT_fl.numbered_sgpr, max(33, .L__assert_fail.numbered_sgpr)
	.set _ZN4vllm18convert_fp8_kernelIh14__hip_bfloat16LNS_18Fp8KVCacheDataTypeE0EEEvPKT0_PT_fl.num_named_barrier, max(0, .L__assert_fail.num_named_barrier)
	.set _ZN4vllm18convert_fp8_kernelIh14__hip_bfloat16LNS_18Fp8KVCacheDataTypeE0EEEvPKT0_PT_fl.private_seg_size, 0+max(.L__assert_fail.private_seg_size)
	.set _ZN4vllm18convert_fp8_kernelIh14__hip_bfloat16LNS_18Fp8KVCacheDataTypeE0EEEvPKT0_PT_fl.uses_vcc, or(1, .L__assert_fail.uses_vcc)
	.set _ZN4vllm18convert_fp8_kernelIh14__hip_bfloat16LNS_18Fp8KVCacheDataTypeE0EEEvPKT0_PT_fl.uses_flat_scratch, or(0, .L__assert_fail.uses_flat_scratch)
	.set _ZN4vllm18convert_fp8_kernelIh14__hip_bfloat16LNS_18Fp8KVCacheDataTypeE0EEEvPKT0_PT_fl.has_dyn_sized_stack, or(0, .L__assert_fail.has_dyn_sized_stack)
	.set _ZN4vllm18convert_fp8_kernelIh14__hip_bfloat16LNS_18Fp8KVCacheDataTypeE0EEEvPKT0_PT_fl.has_recursion, or(0, .L__assert_fail.has_recursion)
	.set _ZN4vllm18convert_fp8_kernelIh14__hip_bfloat16LNS_18Fp8KVCacheDataTypeE0EEEvPKT0_PT_fl.has_indirect_call, or(0, .L__assert_fail.has_indirect_call)
	.section	.AMDGPU.csdata,"",@progbits
; Kernel info:
; codeLenInByte = 120
; TotalNumSgprs: 36
; NumVgprs: 49
; ScratchSize: 64
; MemoryBound: 0
; FloatMode: 240
; IeeeMode: 1
; LDSByteSize: 0 bytes/workgroup (compile time only)
; SGPRBlocks: 0
; VGPRBlocks: 6
; NumSGPRsForWavesPerEU: 36
; NumVGPRsForWavesPerEU: 49
; Occupancy: 16
; WaveLimiterHint : 1
; COMPUTE_PGM_RSRC2:SCRATCH_EN: 1
; COMPUTE_PGM_RSRC2:USER_SGPR: 2
; COMPUTE_PGM_RSRC2:TRAP_HANDLER: 0
; COMPUTE_PGM_RSRC2:TGID_X_EN: 1
; COMPUTE_PGM_RSRC2:TGID_Y_EN: 0
; COMPUTE_PGM_RSRC2:TGID_Z_EN: 0
; COMPUTE_PGM_RSRC2:TIDIG_COMP_CNT: 0
	.section	.text._ZN4vllm18convert_fp8_kernelIfhLNS_18Fp8KVCacheDataTypeE0EEEvPKT0_PT_fl,"axG",@progbits,_ZN4vllm18convert_fp8_kernelIfhLNS_18Fp8KVCacheDataTypeE0EEEvPKT0_PT_fl,comdat
	.protected	_ZN4vllm18convert_fp8_kernelIfhLNS_18Fp8KVCacheDataTypeE0EEEvPKT0_PT_fl ; -- Begin function _ZN4vllm18convert_fp8_kernelIfhLNS_18Fp8KVCacheDataTypeE0EEEvPKT0_PT_fl
	.globl	_ZN4vllm18convert_fp8_kernelIfhLNS_18Fp8KVCacheDataTypeE0EEEvPKT0_PT_fl
	.p2align	8
	.type	_ZN4vllm18convert_fp8_kernelIfhLNS_18Fp8KVCacheDataTypeE0EEEvPKT0_PT_fl,@function
_ZN4vllm18convert_fp8_kernelIfhLNS_18Fp8KVCacheDataTypeE0EEEvPKT0_PT_fl: ; @_ZN4vllm18convert_fp8_kernelIfhLNS_18Fp8KVCacheDataTypeE0EEEvPKT0_PT_fl
; %bb.0:
	s_load_b64 s[2:3], s[0:1], 0x18
	v_mov_b32_e32 v1, 0
	s_mov_b32 s32, 0
	s_wait_kmcnt 0x0
	s_delay_alu instid0(VALU_DEP_1)
	v_cmp_gt_i64_e32 vcc_lo, s[2:3], v[0:1]
	s_and_saveexec_b32 s2, vcc_lo
	s_cbranch_execz .LBB31_2
; %bb.1:
	s_getpc_b64 s[2:3]
	s_wait_alu 0xfffe
	s_sext_i32_i16 s3, s3
	s_add_co_u32 s2, s2, __PRETTY_FUNCTION__._ZN4vllm3fp814scaled_convertIfhLNS_18Fp8KVCacheDataTypeE0EEET_RKT0_f@rel32@lo+12
	s_wait_alu 0xfffe
	s_add_co_ci_u32 s3, s3, __PRETTY_FUNCTION__._ZN4vllm3fp814scaled_convertIfhLNS_18Fp8KVCacheDataTypeE0EEET_RKT0_f@rel32@hi+24
	s_wait_alu 0xfffe
	v_dual_mov_b32 v0, s2 :: v_dual_mov_b32 v1, s3
	s_add_nc_u64 s[8:9], s[0:1], 32
	s_getpc_b64 s[0:1]
	s_sext_i32_i16 s1, s1
	s_add_co_u32 s0, s0, __assert_fail@rel32@lo+8
	s_add_co_ci_u32 s1, s1, __assert_fail@rel32@hi+16
	s_delay_alu instid0(SALU_CYCLE_1)
	s_swappc_b64 s[30:31], s[0:1]
	; divergent unreachable
.LBB31_2:
	s_endpgm
	.section	.rodata,"a",@progbits
	.p2align	6, 0x0
	.amdhsa_kernel _ZN4vllm18convert_fp8_kernelIfhLNS_18Fp8KVCacheDataTypeE0EEEvPKT0_PT_fl
		.amdhsa_group_segment_fixed_size 0
		.amdhsa_private_segment_fixed_size 64
		.amdhsa_kernarg_size 288
		.amdhsa_user_sgpr_count 2
		.amdhsa_user_sgpr_dispatch_ptr 0
		.amdhsa_user_sgpr_queue_ptr 0
		.amdhsa_user_sgpr_kernarg_segment_ptr 1
		.amdhsa_user_sgpr_dispatch_id 0
		.amdhsa_user_sgpr_private_segment_size 0
		.amdhsa_wavefront_size32 1
		.amdhsa_uses_dynamic_stack 0
		.amdhsa_enable_private_segment 1
		.amdhsa_system_sgpr_workgroup_id_x 1
		.amdhsa_system_sgpr_workgroup_id_y 0
		.amdhsa_system_sgpr_workgroup_id_z 0
		.amdhsa_system_sgpr_workgroup_info 0
		.amdhsa_system_vgpr_workitem_id 0
		.amdhsa_next_free_vgpr 49
		.amdhsa_next_free_sgpr 34
		.amdhsa_reserve_vcc 1
		.amdhsa_float_round_mode_32 0
		.amdhsa_float_round_mode_16_64 0
		.amdhsa_float_denorm_mode_32 3
		.amdhsa_float_denorm_mode_16_64 3
		.amdhsa_fp16_overflow 0
		.amdhsa_workgroup_processor_mode 1
		.amdhsa_memory_ordered 1
		.amdhsa_forward_progress 1
		.amdhsa_inst_pref_size 1
		.amdhsa_round_robin_scheduling 0
		.amdhsa_exception_fp_ieee_invalid_op 0
		.amdhsa_exception_fp_denorm_src 0
		.amdhsa_exception_fp_ieee_div_zero 0
		.amdhsa_exception_fp_ieee_overflow 0
		.amdhsa_exception_fp_ieee_underflow 0
		.amdhsa_exception_fp_ieee_inexact 0
		.amdhsa_exception_int_div_zero 0
	.end_amdhsa_kernel
	.section	.text._ZN4vllm18convert_fp8_kernelIfhLNS_18Fp8KVCacheDataTypeE0EEEvPKT0_PT_fl,"axG",@progbits,_ZN4vllm18convert_fp8_kernelIfhLNS_18Fp8KVCacheDataTypeE0EEEvPKT0_PT_fl,comdat
.Lfunc_end31:
	.size	_ZN4vllm18convert_fp8_kernelIfhLNS_18Fp8KVCacheDataTypeE0EEEvPKT0_PT_fl, .Lfunc_end31-_ZN4vllm18convert_fp8_kernelIfhLNS_18Fp8KVCacheDataTypeE0EEEvPKT0_PT_fl
                                        ; -- End function
	.set _ZN4vllm18convert_fp8_kernelIfhLNS_18Fp8KVCacheDataTypeE0EEEvPKT0_PT_fl.num_vgpr, max(2, .L__assert_fail.num_vgpr)
	.set _ZN4vllm18convert_fp8_kernelIfhLNS_18Fp8KVCacheDataTypeE0EEEvPKT0_PT_fl.num_agpr, max(0, .L__assert_fail.num_agpr)
	.set _ZN4vllm18convert_fp8_kernelIfhLNS_18Fp8KVCacheDataTypeE0EEEvPKT0_PT_fl.numbered_sgpr, max(33, .L__assert_fail.numbered_sgpr)
	.set _ZN4vllm18convert_fp8_kernelIfhLNS_18Fp8KVCacheDataTypeE0EEEvPKT0_PT_fl.num_named_barrier, max(0, .L__assert_fail.num_named_barrier)
	.set _ZN4vllm18convert_fp8_kernelIfhLNS_18Fp8KVCacheDataTypeE0EEEvPKT0_PT_fl.private_seg_size, 0+max(.L__assert_fail.private_seg_size)
	.set _ZN4vllm18convert_fp8_kernelIfhLNS_18Fp8KVCacheDataTypeE0EEEvPKT0_PT_fl.uses_vcc, or(1, .L__assert_fail.uses_vcc)
	.set _ZN4vllm18convert_fp8_kernelIfhLNS_18Fp8KVCacheDataTypeE0EEEvPKT0_PT_fl.uses_flat_scratch, or(0, .L__assert_fail.uses_flat_scratch)
	.set _ZN4vllm18convert_fp8_kernelIfhLNS_18Fp8KVCacheDataTypeE0EEEvPKT0_PT_fl.has_dyn_sized_stack, or(0, .L__assert_fail.has_dyn_sized_stack)
	.set _ZN4vllm18convert_fp8_kernelIfhLNS_18Fp8KVCacheDataTypeE0EEEvPKT0_PT_fl.has_recursion, or(0, .L__assert_fail.has_recursion)
	.set _ZN4vllm18convert_fp8_kernelIfhLNS_18Fp8KVCacheDataTypeE0EEEvPKT0_PT_fl.has_indirect_call, or(0, .L__assert_fail.has_indirect_call)
	.section	.AMDGPU.csdata,"",@progbits
; Kernel info:
; codeLenInByte = 120
; TotalNumSgprs: 36
; NumVgprs: 49
; ScratchSize: 64
; MemoryBound: 0
; FloatMode: 240
; IeeeMode: 1
; LDSByteSize: 0 bytes/workgroup (compile time only)
; SGPRBlocks: 0
; VGPRBlocks: 6
; NumSGPRsForWavesPerEU: 36
; NumVGPRsForWavesPerEU: 49
; Occupancy: 16
; WaveLimiterHint : 1
; COMPUTE_PGM_RSRC2:SCRATCH_EN: 1
; COMPUTE_PGM_RSRC2:USER_SGPR: 2
; COMPUTE_PGM_RSRC2:TRAP_HANDLER: 0
; COMPUTE_PGM_RSRC2:TGID_X_EN: 1
; COMPUTE_PGM_RSRC2:TGID_Y_EN: 0
; COMPUTE_PGM_RSRC2:TGID_Z_EN: 0
; COMPUTE_PGM_RSRC2:TIDIG_COMP_CNT: 0
	.section	.text._ZN4vllm18convert_fp8_kernelIthLNS_18Fp8KVCacheDataTypeE0EEEvPKT0_PT_fl,"axG",@progbits,_ZN4vllm18convert_fp8_kernelIthLNS_18Fp8KVCacheDataTypeE0EEEvPKT0_PT_fl,comdat
	.protected	_ZN4vllm18convert_fp8_kernelIthLNS_18Fp8KVCacheDataTypeE0EEEvPKT0_PT_fl ; -- Begin function _ZN4vllm18convert_fp8_kernelIthLNS_18Fp8KVCacheDataTypeE0EEEvPKT0_PT_fl
	.globl	_ZN4vllm18convert_fp8_kernelIthLNS_18Fp8KVCacheDataTypeE0EEEvPKT0_PT_fl
	.p2align	8
	.type	_ZN4vllm18convert_fp8_kernelIthLNS_18Fp8KVCacheDataTypeE0EEEvPKT0_PT_fl,@function
_ZN4vllm18convert_fp8_kernelIthLNS_18Fp8KVCacheDataTypeE0EEEvPKT0_PT_fl: ; @_ZN4vllm18convert_fp8_kernelIthLNS_18Fp8KVCacheDataTypeE0EEEvPKT0_PT_fl
; %bb.0:
	s_load_b64 s[2:3], s[0:1], 0x18
	v_mov_b32_e32 v1, 0
	s_mov_b32 s32, 0
	s_wait_kmcnt 0x0
	s_delay_alu instid0(VALU_DEP_1)
	v_cmp_gt_i64_e32 vcc_lo, s[2:3], v[0:1]
	s_and_saveexec_b32 s2, vcc_lo
	s_cbranch_execz .LBB32_2
; %bb.1:
	s_getpc_b64 s[2:3]
	s_wait_alu 0xfffe
	s_sext_i32_i16 s3, s3
	s_add_co_u32 s2, s2, __PRETTY_FUNCTION__._ZN4vllm3fp814scaled_convertIthLNS_18Fp8KVCacheDataTypeE0EEET_RKT0_f@rel32@lo+12
	s_wait_alu 0xfffe
	s_add_co_ci_u32 s3, s3, __PRETTY_FUNCTION__._ZN4vllm3fp814scaled_convertIthLNS_18Fp8KVCacheDataTypeE0EEET_RKT0_f@rel32@hi+24
	s_wait_alu 0xfffe
	v_dual_mov_b32 v0, s2 :: v_dual_mov_b32 v1, s3
	s_add_nc_u64 s[8:9], s[0:1], 32
	s_getpc_b64 s[0:1]
	s_sext_i32_i16 s1, s1
	s_add_co_u32 s0, s0, __assert_fail@rel32@lo+8
	s_add_co_ci_u32 s1, s1, __assert_fail@rel32@hi+16
	s_delay_alu instid0(SALU_CYCLE_1)
	s_swappc_b64 s[30:31], s[0:1]
	; divergent unreachable
.LBB32_2:
	s_endpgm
	.section	.rodata,"a",@progbits
	.p2align	6, 0x0
	.amdhsa_kernel _ZN4vllm18convert_fp8_kernelIthLNS_18Fp8KVCacheDataTypeE0EEEvPKT0_PT_fl
		.amdhsa_group_segment_fixed_size 0
		.amdhsa_private_segment_fixed_size 64
		.amdhsa_kernarg_size 288
		.amdhsa_user_sgpr_count 2
		.amdhsa_user_sgpr_dispatch_ptr 0
		.amdhsa_user_sgpr_queue_ptr 0
		.amdhsa_user_sgpr_kernarg_segment_ptr 1
		.amdhsa_user_sgpr_dispatch_id 0
		.amdhsa_user_sgpr_private_segment_size 0
		.amdhsa_wavefront_size32 1
		.amdhsa_uses_dynamic_stack 0
		.amdhsa_enable_private_segment 1
		.amdhsa_system_sgpr_workgroup_id_x 1
		.amdhsa_system_sgpr_workgroup_id_y 0
		.amdhsa_system_sgpr_workgroup_id_z 0
		.amdhsa_system_sgpr_workgroup_info 0
		.amdhsa_system_vgpr_workitem_id 0
		.amdhsa_next_free_vgpr 49
		.amdhsa_next_free_sgpr 34
		.amdhsa_reserve_vcc 1
		.amdhsa_float_round_mode_32 0
		.amdhsa_float_round_mode_16_64 0
		.amdhsa_float_denorm_mode_32 3
		.amdhsa_float_denorm_mode_16_64 3
		.amdhsa_fp16_overflow 0
		.amdhsa_workgroup_processor_mode 1
		.amdhsa_memory_ordered 1
		.amdhsa_forward_progress 1
		.amdhsa_inst_pref_size 1
		.amdhsa_round_robin_scheduling 0
		.amdhsa_exception_fp_ieee_invalid_op 0
		.amdhsa_exception_fp_denorm_src 0
		.amdhsa_exception_fp_ieee_div_zero 0
		.amdhsa_exception_fp_ieee_overflow 0
		.amdhsa_exception_fp_ieee_underflow 0
		.amdhsa_exception_fp_ieee_inexact 0
		.amdhsa_exception_int_div_zero 0
	.end_amdhsa_kernel
	.section	.text._ZN4vllm18convert_fp8_kernelIthLNS_18Fp8KVCacheDataTypeE0EEEvPKT0_PT_fl,"axG",@progbits,_ZN4vllm18convert_fp8_kernelIthLNS_18Fp8KVCacheDataTypeE0EEEvPKT0_PT_fl,comdat
.Lfunc_end32:
	.size	_ZN4vllm18convert_fp8_kernelIthLNS_18Fp8KVCacheDataTypeE0EEEvPKT0_PT_fl, .Lfunc_end32-_ZN4vllm18convert_fp8_kernelIthLNS_18Fp8KVCacheDataTypeE0EEEvPKT0_PT_fl
                                        ; -- End function
	.set _ZN4vllm18convert_fp8_kernelIthLNS_18Fp8KVCacheDataTypeE0EEEvPKT0_PT_fl.num_vgpr, max(2, .L__assert_fail.num_vgpr)
	.set _ZN4vllm18convert_fp8_kernelIthLNS_18Fp8KVCacheDataTypeE0EEEvPKT0_PT_fl.num_agpr, max(0, .L__assert_fail.num_agpr)
	.set _ZN4vllm18convert_fp8_kernelIthLNS_18Fp8KVCacheDataTypeE0EEEvPKT0_PT_fl.numbered_sgpr, max(33, .L__assert_fail.numbered_sgpr)
	.set _ZN4vllm18convert_fp8_kernelIthLNS_18Fp8KVCacheDataTypeE0EEEvPKT0_PT_fl.num_named_barrier, max(0, .L__assert_fail.num_named_barrier)
	.set _ZN4vllm18convert_fp8_kernelIthLNS_18Fp8KVCacheDataTypeE0EEEvPKT0_PT_fl.private_seg_size, 0+max(.L__assert_fail.private_seg_size)
	.set _ZN4vllm18convert_fp8_kernelIthLNS_18Fp8KVCacheDataTypeE0EEEvPKT0_PT_fl.uses_vcc, or(1, .L__assert_fail.uses_vcc)
	.set _ZN4vllm18convert_fp8_kernelIthLNS_18Fp8KVCacheDataTypeE0EEEvPKT0_PT_fl.uses_flat_scratch, or(0, .L__assert_fail.uses_flat_scratch)
	.set _ZN4vllm18convert_fp8_kernelIthLNS_18Fp8KVCacheDataTypeE0EEEvPKT0_PT_fl.has_dyn_sized_stack, or(0, .L__assert_fail.has_dyn_sized_stack)
	.set _ZN4vllm18convert_fp8_kernelIthLNS_18Fp8KVCacheDataTypeE0EEEvPKT0_PT_fl.has_recursion, or(0, .L__assert_fail.has_recursion)
	.set _ZN4vllm18convert_fp8_kernelIthLNS_18Fp8KVCacheDataTypeE0EEEvPKT0_PT_fl.has_indirect_call, or(0, .L__assert_fail.has_indirect_call)
	.section	.AMDGPU.csdata,"",@progbits
; Kernel info:
; codeLenInByte = 120
; TotalNumSgprs: 36
; NumVgprs: 49
; ScratchSize: 64
; MemoryBound: 0
; FloatMode: 240
; IeeeMode: 1
; LDSByteSize: 0 bytes/workgroup (compile time only)
; SGPRBlocks: 0
; VGPRBlocks: 6
; NumSGPRsForWavesPerEU: 36
; NumVGPRsForWavesPerEU: 49
; Occupancy: 16
; WaveLimiterHint : 1
; COMPUTE_PGM_RSRC2:SCRATCH_EN: 1
; COMPUTE_PGM_RSRC2:USER_SGPR: 2
; COMPUTE_PGM_RSRC2:TRAP_HANDLER: 0
; COMPUTE_PGM_RSRC2:TGID_X_EN: 1
; COMPUTE_PGM_RSRC2:TGID_Y_EN: 0
; COMPUTE_PGM_RSRC2:TGID_Z_EN: 0
; COMPUTE_PGM_RSRC2:TIDIG_COMP_CNT: 0
	.section	.text._ZN4vllm18convert_fp8_kernelI14__hip_bfloat16hLNS_18Fp8KVCacheDataTypeE0EEEvPKT0_PT_fl,"axG",@progbits,_ZN4vllm18convert_fp8_kernelI14__hip_bfloat16hLNS_18Fp8KVCacheDataTypeE0EEEvPKT0_PT_fl,comdat
	.protected	_ZN4vllm18convert_fp8_kernelI14__hip_bfloat16hLNS_18Fp8KVCacheDataTypeE0EEEvPKT0_PT_fl ; -- Begin function _ZN4vllm18convert_fp8_kernelI14__hip_bfloat16hLNS_18Fp8KVCacheDataTypeE0EEEvPKT0_PT_fl
	.globl	_ZN4vllm18convert_fp8_kernelI14__hip_bfloat16hLNS_18Fp8KVCacheDataTypeE0EEEvPKT0_PT_fl
	.p2align	8
	.type	_ZN4vllm18convert_fp8_kernelI14__hip_bfloat16hLNS_18Fp8KVCacheDataTypeE0EEEvPKT0_PT_fl,@function
_ZN4vllm18convert_fp8_kernelI14__hip_bfloat16hLNS_18Fp8KVCacheDataTypeE0EEEvPKT0_PT_fl: ; @_ZN4vllm18convert_fp8_kernelI14__hip_bfloat16hLNS_18Fp8KVCacheDataTypeE0EEEvPKT0_PT_fl
; %bb.0:
	s_load_b64 s[2:3], s[0:1], 0x18
	v_mov_b32_e32 v1, 0
	s_mov_b32 s32, 0
	s_wait_kmcnt 0x0
	s_delay_alu instid0(VALU_DEP_1)
	v_cmp_gt_i64_e32 vcc_lo, s[2:3], v[0:1]
	s_and_saveexec_b32 s2, vcc_lo
	s_cbranch_execz .LBB33_2
; %bb.1:
	s_getpc_b64 s[2:3]
	s_wait_alu 0xfffe
	s_sext_i32_i16 s3, s3
	s_add_co_u32 s2, s2, __PRETTY_FUNCTION__._ZN4vllm3fp814scaled_convertI14__hip_bfloat16hLNS_18Fp8KVCacheDataTypeE0EEET_RKT0_f@rel32@lo+12
	s_wait_alu 0xfffe
	s_add_co_ci_u32 s3, s3, __PRETTY_FUNCTION__._ZN4vllm3fp814scaled_convertI14__hip_bfloat16hLNS_18Fp8KVCacheDataTypeE0EEET_RKT0_f@rel32@hi+24
	s_wait_alu 0xfffe
	v_dual_mov_b32 v0, s2 :: v_dual_mov_b32 v1, s3
	s_add_nc_u64 s[8:9], s[0:1], 32
	s_getpc_b64 s[0:1]
	s_sext_i32_i16 s1, s1
	s_add_co_u32 s0, s0, __assert_fail@rel32@lo+8
	s_add_co_ci_u32 s1, s1, __assert_fail@rel32@hi+16
	s_delay_alu instid0(SALU_CYCLE_1)
	s_swappc_b64 s[30:31], s[0:1]
	; divergent unreachable
.LBB33_2:
	s_endpgm
	.section	.rodata,"a",@progbits
	.p2align	6, 0x0
	.amdhsa_kernel _ZN4vllm18convert_fp8_kernelI14__hip_bfloat16hLNS_18Fp8KVCacheDataTypeE0EEEvPKT0_PT_fl
		.amdhsa_group_segment_fixed_size 0
		.amdhsa_private_segment_fixed_size 64
		.amdhsa_kernarg_size 288
		.amdhsa_user_sgpr_count 2
		.amdhsa_user_sgpr_dispatch_ptr 0
		.amdhsa_user_sgpr_queue_ptr 0
		.amdhsa_user_sgpr_kernarg_segment_ptr 1
		.amdhsa_user_sgpr_dispatch_id 0
		.amdhsa_user_sgpr_private_segment_size 0
		.amdhsa_wavefront_size32 1
		.amdhsa_uses_dynamic_stack 0
		.amdhsa_enable_private_segment 1
		.amdhsa_system_sgpr_workgroup_id_x 1
		.amdhsa_system_sgpr_workgroup_id_y 0
		.amdhsa_system_sgpr_workgroup_id_z 0
		.amdhsa_system_sgpr_workgroup_info 0
		.amdhsa_system_vgpr_workitem_id 0
		.amdhsa_next_free_vgpr 49
		.amdhsa_next_free_sgpr 34
		.amdhsa_reserve_vcc 1
		.amdhsa_float_round_mode_32 0
		.amdhsa_float_round_mode_16_64 0
		.amdhsa_float_denorm_mode_32 3
		.amdhsa_float_denorm_mode_16_64 3
		.amdhsa_fp16_overflow 0
		.amdhsa_workgroup_processor_mode 1
		.amdhsa_memory_ordered 1
		.amdhsa_forward_progress 1
		.amdhsa_inst_pref_size 1
		.amdhsa_round_robin_scheduling 0
		.amdhsa_exception_fp_ieee_invalid_op 0
		.amdhsa_exception_fp_denorm_src 0
		.amdhsa_exception_fp_ieee_div_zero 0
		.amdhsa_exception_fp_ieee_overflow 0
		.amdhsa_exception_fp_ieee_underflow 0
		.amdhsa_exception_fp_ieee_inexact 0
		.amdhsa_exception_int_div_zero 0
	.end_amdhsa_kernel
	.section	.text._ZN4vllm18convert_fp8_kernelI14__hip_bfloat16hLNS_18Fp8KVCacheDataTypeE0EEEvPKT0_PT_fl,"axG",@progbits,_ZN4vllm18convert_fp8_kernelI14__hip_bfloat16hLNS_18Fp8KVCacheDataTypeE0EEEvPKT0_PT_fl,comdat
.Lfunc_end33:
	.size	_ZN4vllm18convert_fp8_kernelI14__hip_bfloat16hLNS_18Fp8KVCacheDataTypeE0EEEvPKT0_PT_fl, .Lfunc_end33-_ZN4vllm18convert_fp8_kernelI14__hip_bfloat16hLNS_18Fp8KVCacheDataTypeE0EEEvPKT0_PT_fl
                                        ; -- End function
	.set _ZN4vllm18convert_fp8_kernelI14__hip_bfloat16hLNS_18Fp8KVCacheDataTypeE0EEEvPKT0_PT_fl.num_vgpr, max(2, .L__assert_fail.num_vgpr)
	.set _ZN4vllm18convert_fp8_kernelI14__hip_bfloat16hLNS_18Fp8KVCacheDataTypeE0EEEvPKT0_PT_fl.num_agpr, max(0, .L__assert_fail.num_agpr)
	.set _ZN4vllm18convert_fp8_kernelI14__hip_bfloat16hLNS_18Fp8KVCacheDataTypeE0EEEvPKT0_PT_fl.numbered_sgpr, max(33, .L__assert_fail.numbered_sgpr)
	.set _ZN4vllm18convert_fp8_kernelI14__hip_bfloat16hLNS_18Fp8KVCacheDataTypeE0EEEvPKT0_PT_fl.num_named_barrier, max(0, .L__assert_fail.num_named_barrier)
	.set _ZN4vllm18convert_fp8_kernelI14__hip_bfloat16hLNS_18Fp8KVCacheDataTypeE0EEEvPKT0_PT_fl.private_seg_size, 0+max(.L__assert_fail.private_seg_size)
	.set _ZN4vllm18convert_fp8_kernelI14__hip_bfloat16hLNS_18Fp8KVCacheDataTypeE0EEEvPKT0_PT_fl.uses_vcc, or(1, .L__assert_fail.uses_vcc)
	.set _ZN4vllm18convert_fp8_kernelI14__hip_bfloat16hLNS_18Fp8KVCacheDataTypeE0EEEvPKT0_PT_fl.uses_flat_scratch, or(0, .L__assert_fail.uses_flat_scratch)
	.set _ZN4vllm18convert_fp8_kernelI14__hip_bfloat16hLNS_18Fp8KVCacheDataTypeE0EEEvPKT0_PT_fl.has_dyn_sized_stack, or(0, .L__assert_fail.has_dyn_sized_stack)
	.set _ZN4vllm18convert_fp8_kernelI14__hip_bfloat16hLNS_18Fp8KVCacheDataTypeE0EEEvPKT0_PT_fl.has_recursion, or(0, .L__assert_fail.has_recursion)
	.set _ZN4vllm18convert_fp8_kernelI14__hip_bfloat16hLNS_18Fp8KVCacheDataTypeE0EEEvPKT0_PT_fl.has_indirect_call, or(0, .L__assert_fail.has_indirect_call)
	.section	.AMDGPU.csdata,"",@progbits
; Kernel info:
; codeLenInByte = 120
; TotalNumSgprs: 36
; NumVgprs: 49
; ScratchSize: 64
; MemoryBound: 0
; FloatMode: 240
; IeeeMode: 1
; LDSByteSize: 0 bytes/workgroup (compile time only)
; SGPRBlocks: 0
; VGPRBlocks: 6
; NumSGPRsForWavesPerEU: 36
; NumVGPRsForWavesPerEU: 49
; Occupancy: 16
; WaveLimiterHint : 1
; COMPUTE_PGM_RSRC2:SCRATCH_EN: 1
; COMPUTE_PGM_RSRC2:USER_SGPR: 2
; COMPUTE_PGM_RSRC2:TRAP_HANDLER: 0
; COMPUTE_PGM_RSRC2:TGID_X_EN: 1
; COMPUTE_PGM_RSRC2:TGID_Y_EN: 0
; COMPUTE_PGM_RSRC2:TGID_Z_EN: 0
; COMPUTE_PGM_RSRC2:TIDIG_COMP_CNT: 0
	.section	.text._ZN4vllm18convert_fp8_kernelIhfLNS_18Fp8KVCacheDataTypeE1EEEvPKT0_PT_fl,"axG",@progbits,_ZN4vllm18convert_fp8_kernelIhfLNS_18Fp8KVCacheDataTypeE1EEEvPKT0_PT_fl,comdat
	.protected	_ZN4vllm18convert_fp8_kernelIhfLNS_18Fp8KVCacheDataTypeE1EEEvPKT0_PT_fl ; -- Begin function _ZN4vllm18convert_fp8_kernelIhfLNS_18Fp8KVCacheDataTypeE1EEEvPKT0_PT_fl
	.globl	_ZN4vllm18convert_fp8_kernelIhfLNS_18Fp8KVCacheDataTypeE1EEEvPKT0_PT_fl
	.p2align	8
	.type	_ZN4vllm18convert_fp8_kernelIhfLNS_18Fp8KVCacheDataTypeE1EEEvPKT0_PT_fl,@function
_ZN4vllm18convert_fp8_kernelIhfLNS_18Fp8KVCacheDataTypeE1EEEvPKT0_PT_fl: ; @_ZN4vllm18convert_fp8_kernelIhfLNS_18Fp8KVCacheDataTypeE1EEEvPKT0_PT_fl
; %bb.0:
	s_load_b64 s[2:3], s[0:1], 0x18
	v_mov_b32_e32 v1, 0
	s_mov_b32 s4, exec_lo
	s_wait_kmcnt 0x0
	s_delay_alu instid0(VALU_DEP_1)
	v_cmpx_gt_i64_e64 s[2:3], v[0:1]
	s_cbranch_execz .LBB34_3
; %bb.1:
	s_clause 0x2
	s_load_b32 s9, s[0:1], 0x2c
	s_load_b128 s[4:7], s[0:1], 0x0
	s_load_b32 s1, s[0:1], 0x10
	s_mov_b32 s8, ttmp9
	s_wait_kmcnt 0x0
	s_and_b32 s12, s9, 0xffff
	s_mov_b32 s9, 0
	v_add_nc_u32_e32 v2, s12, v0
	s_mul_u64 s[10:11], s[2:3], s[8:9]
	s_mov_b32 s8, 0x43e00000
.LBB34_2:                               ; =>This Inner Loop Header: Depth=1
	v_add_co_u32 v0, vcc_lo, v0, s10
	s_wait_alu 0xfffd
	v_add_co_ci_u32_e64 v1, null, s11, v1, vcc_lo
	s_delay_alu instid0(VALU_DEP_1) | instskip(NEXT) | instid1(VALU_DEP_1)
	v_lshlrev_b64_e32 v[3:4], 2, v[0:1]
	v_add_co_u32 v3, vcc_lo, s4, v3
	s_wait_alu 0xfffd
	s_delay_alu instid0(VALU_DEP_2) | instskip(SKIP_4) | instid1(VALU_DEP_2)
	v_add_co_ci_u32_e64 v4, null, s5, v4, vcc_lo
	global_load_b32 v3, v[3:4], off
	s_wait_loadcnt 0x0
	v_div_scale_f32 v4, null, s1, s1, v3
	v_div_scale_f32 v7, vcc_lo, v3, s1, v3
	v_rcp_f32_e32 v5, v4
	s_delay_alu instid0(TRANS32_DEP_1) | instskip(NEXT) | instid1(VALU_DEP_1)
	v_fma_f32 v6, -v4, v5, 1.0
	v_fmac_f32_e32 v5, v6, v5
	s_delay_alu instid0(VALU_DEP_1) | instskip(NEXT) | instid1(VALU_DEP_1)
	v_mul_f32_e32 v6, v7, v5
	v_fma_f32 v8, -v4, v6, v7
	s_delay_alu instid0(VALU_DEP_1) | instskip(NEXT) | instid1(VALU_DEP_1)
	v_fmac_f32_e32 v6, v8, v5
	v_fma_f32 v4, -v4, v6, v7
	s_wait_alu 0xfffd
	s_delay_alu instid0(VALU_DEP_1) | instskip(SKIP_1) | instid1(VALU_DEP_2)
	v_div_fmas_f32 v4, v4, v5, v6
	v_mov_b32_e32 v6, 0
	v_div_fixup_f32 v4, v4, s1, v3
	v_ashrrev_i32_e32 v3, 31, v2
	s_delay_alu instid0(VALU_DEP_2) | instskip(SKIP_1) | instid1(VALU_DEP_3)
	v_med3_num_f32 v5, v4, s8, 0xc3e00000
	v_cmp_nlg_f32_e64 s0, 0x7f800000, |v4|
	v_cmp_le_i64_e32 vcc_lo, s[2:3], v[2:3]
	s_wait_alu 0xf1ff
	s_delay_alu instid0(VALU_DEP_2)
	v_cndmask_b32_e64 v7, v5, v4, s0
	v_add_co_u32 v4, s0, s6, v0
	s_wait_alu 0xf1ff
	v_add_co_ci_u32_e64 v5, null, s7, v1, s0
	v_dual_mov_b32 v0, v2 :: v_dual_mov_b32 v1, v3
	v_cvt_pk_fp8_f32 v6, v7, v7
	v_add_nc_u32_e32 v2, s12, v2
	s_or_b32 s9, vcc_lo, s9
	global_store_b8 v[4:5], v6, off
	s_wait_alu 0xfffe
	s_and_not1_b32 exec_lo, exec_lo, s9
	s_cbranch_execnz .LBB34_2
.LBB34_3:
	s_endpgm
	.section	.rodata,"a",@progbits
	.p2align	6, 0x0
	.amdhsa_kernel _ZN4vllm18convert_fp8_kernelIhfLNS_18Fp8KVCacheDataTypeE1EEEvPKT0_PT_fl
		.amdhsa_group_segment_fixed_size 0
		.amdhsa_private_segment_fixed_size 0
		.amdhsa_kernarg_size 288
		.amdhsa_user_sgpr_count 2
		.amdhsa_user_sgpr_dispatch_ptr 0
		.amdhsa_user_sgpr_queue_ptr 0
		.amdhsa_user_sgpr_kernarg_segment_ptr 1
		.amdhsa_user_sgpr_dispatch_id 0
		.amdhsa_user_sgpr_private_segment_size 0
		.amdhsa_wavefront_size32 1
		.amdhsa_uses_dynamic_stack 0
		.amdhsa_enable_private_segment 0
		.amdhsa_system_sgpr_workgroup_id_x 1
		.amdhsa_system_sgpr_workgroup_id_y 0
		.amdhsa_system_sgpr_workgroup_id_z 0
		.amdhsa_system_sgpr_workgroup_info 0
		.amdhsa_system_vgpr_workitem_id 0
		.amdhsa_next_free_vgpr 9
		.amdhsa_next_free_sgpr 13
		.amdhsa_reserve_vcc 1
		.amdhsa_float_round_mode_32 0
		.amdhsa_float_round_mode_16_64 0
		.amdhsa_float_denorm_mode_32 3
		.amdhsa_float_denorm_mode_16_64 3
		.amdhsa_fp16_overflow 0
		.amdhsa_workgroup_processor_mode 1
		.amdhsa_memory_ordered 1
		.amdhsa_forward_progress 1
		.amdhsa_inst_pref_size 4
		.amdhsa_round_robin_scheduling 0
		.amdhsa_exception_fp_ieee_invalid_op 0
		.amdhsa_exception_fp_denorm_src 0
		.amdhsa_exception_fp_ieee_div_zero 0
		.amdhsa_exception_fp_ieee_overflow 0
		.amdhsa_exception_fp_ieee_underflow 0
		.amdhsa_exception_fp_ieee_inexact 0
		.amdhsa_exception_int_div_zero 0
	.end_amdhsa_kernel
	.section	.text._ZN4vllm18convert_fp8_kernelIhfLNS_18Fp8KVCacheDataTypeE1EEEvPKT0_PT_fl,"axG",@progbits,_ZN4vllm18convert_fp8_kernelIhfLNS_18Fp8KVCacheDataTypeE1EEEvPKT0_PT_fl,comdat
.Lfunc_end34:
	.size	_ZN4vllm18convert_fp8_kernelIhfLNS_18Fp8KVCacheDataTypeE1EEEvPKT0_PT_fl, .Lfunc_end34-_ZN4vllm18convert_fp8_kernelIhfLNS_18Fp8KVCacheDataTypeE1EEEvPKT0_PT_fl
                                        ; -- End function
	.set _ZN4vllm18convert_fp8_kernelIhfLNS_18Fp8KVCacheDataTypeE1EEEvPKT0_PT_fl.num_vgpr, 9
	.set _ZN4vllm18convert_fp8_kernelIhfLNS_18Fp8KVCacheDataTypeE1EEEvPKT0_PT_fl.num_agpr, 0
	.set _ZN4vllm18convert_fp8_kernelIhfLNS_18Fp8KVCacheDataTypeE1EEEvPKT0_PT_fl.numbered_sgpr, 13
	.set _ZN4vllm18convert_fp8_kernelIhfLNS_18Fp8KVCacheDataTypeE1EEEvPKT0_PT_fl.num_named_barrier, 0
	.set _ZN4vllm18convert_fp8_kernelIhfLNS_18Fp8KVCacheDataTypeE1EEEvPKT0_PT_fl.private_seg_size, 0
	.set _ZN4vllm18convert_fp8_kernelIhfLNS_18Fp8KVCacheDataTypeE1EEEvPKT0_PT_fl.uses_vcc, 1
	.set _ZN4vllm18convert_fp8_kernelIhfLNS_18Fp8KVCacheDataTypeE1EEEvPKT0_PT_fl.uses_flat_scratch, 0
	.set _ZN4vllm18convert_fp8_kernelIhfLNS_18Fp8KVCacheDataTypeE1EEEvPKT0_PT_fl.has_dyn_sized_stack, 0
	.set _ZN4vllm18convert_fp8_kernelIhfLNS_18Fp8KVCacheDataTypeE1EEEvPKT0_PT_fl.has_recursion, 0
	.set _ZN4vllm18convert_fp8_kernelIhfLNS_18Fp8KVCacheDataTypeE1EEEvPKT0_PT_fl.has_indirect_call, 0
	.section	.AMDGPU.csdata,"",@progbits
; Kernel info:
; codeLenInByte = 388
; TotalNumSgprs: 15
; NumVgprs: 9
; ScratchSize: 0
; MemoryBound: 0
; FloatMode: 240
; IeeeMode: 1
; LDSByteSize: 0 bytes/workgroup (compile time only)
; SGPRBlocks: 0
; VGPRBlocks: 1
; NumSGPRsForWavesPerEU: 15
; NumVGPRsForWavesPerEU: 9
; Occupancy: 16
; WaveLimiterHint : 0
; COMPUTE_PGM_RSRC2:SCRATCH_EN: 0
; COMPUTE_PGM_RSRC2:USER_SGPR: 2
; COMPUTE_PGM_RSRC2:TRAP_HANDLER: 0
; COMPUTE_PGM_RSRC2:TGID_X_EN: 1
; COMPUTE_PGM_RSRC2:TGID_Y_EN: 0
; COMPUTE_PGM_RSRC2:TGID_Z_EN: 0
; COMPUTE_PGM_RSRC2:TIDIG_COMP_CNT: 0
	.section	.text._ZN4vllm18convert_fp8_kernelIhtLNS_18Fp8KVCacheDataTypeE1EEEvPKT0_PT_fl,"axG",@progbits,_ZN4vllm18convert_fp8_kernelIhtLNS_18Fp8KVCacheDataTypeE1EEEvPKT0_PT_fl,comdat
	.protected	_ZN4vllm18convert_fp8_kernelIhtLNS_18Fp8KVCacheDataTypeE1EEEvPKT0_PT_fl ; -- Begin function _ZN4vllm18convert_fp8_kernelIhtLNS_18Fp8KVCacheDataTypeE1EEEvPKT0_PT_fl
	.globl	_ZN4vllm18convert_fp8_kernelIhtLNS_18Fp8KVCacheDataTypeE1EEEvPKT0_PT_fl
	.p2align	8
	.type	_ZN4vllm18convert_fp8_kernelIhtLNS_18Fp8KVCacheDataTypeE1EEEvPKT0_PT_fl,@function
_ZN4vllm18convert_fp8_kernelIhtLNS_18Fp8KVCacheDataTypeE1EEEvPKT0_PT_fl: ; @_ZN4vllm18convert_fp8_kernelIhtLNS_18Fp8KVCacheDataTypeE1EEEvPKT0_PT_fl
; %bb.0:
	s_load_b64 s[2:3], s[0:1], 0x18
	v_mov_b32_e32 v1, 0
	s_mov_b32 s4, exec_lo
	s_wait_kmcnt 0x0
	s_delay_alu instid0(VALU_DEP_1)
	v_cmpx_gt_i64_e64 s[2:3], v[0:1]
	s_cbranch_execz .LBB35_3
; %bb.1:
	s_clause 0x2
	s_load_b32 s9, s[0:1], 0x2c
	s_load_b128 s[4:7], s[0:1], 0x0
	s_load_b32 s1, s[0:1], 0x10
	s_mov_b32 s8, ttmp9
	s_wait_kmcnt 0x0
	s_and_b32 s12, s9, 0xffff
	s_mov_b32 s9, 0
	v_add_nc_u32_e32 v2, s12, v0
	s_mul_u64 s[10:11], s[2:3], s[8:9]
	s_mov_b32 s8, 0x43e00000
.LBB35_2:                               ; =>This Inner Loop Header: Depth=1
	v_add_co_u32 v0, vcc_lo, v0, s10
	s_wait_alu 0xfffd
	v_add_co_ci_u32_e64 v1, null, s11, v1, vcc_lo
	s_delay_alu instid0(VALU_DEP_1) | instskip(NEXT) | instid1(VALU_DEP_1)
	v_lshlrev_b64_e32 v[3:4], 1, v[0:1]
	v_add_co_u32 v3, vcc_lo, s4, v3
	s_wait_alu 0xfffd
	s_delay_alu instid0(VALU_DEP_2) | instskip(SKIP_3) | instid1(VALU_DEP_1)
	v_add_co_ci_u32_e64 v4, null, s5, v4, vcc_lo
	global_load_u16 v3, v[3:4], off
	s_wait_loadcnt 0x0
	v_cvt_f32_f16_e32 v3, v3
	v_div_scale_f32 v4, null, s1, s1, v3
	v_div_scale_f32 v7, vcc_lo, v3, s1, v3
	s_delay_alu instid0(VALU_DEP_2) | instskip(NEXT) | instid1(TRANS32_DEP_1)
	v_rcp_f32_e32 v5, v4
	v_fma_f32 v6, -v4, v5, 1.0
	s_delay_alu instid0(VALU_DEP_1) | instskip(NEXT) | instid1(VALU_DEP_1)
	v_fmac_f32_e32 v5, v6, v5
	v_mul_f32_e32 v6, v7, v5
	s_delay_alu instid0(VALU_DEP_1) | instskip(NEXT) | instid1(VALU_DEP_1)
	v_fma_f32 v8, -v4, v6, v7
	v_fmac_f32_e32 v6, v8, v5
	s_delay_alu instid0(VALU_DEP_1) | instskip(SKIP_1) | instid1(VALU_DEP_1)
	v_fma_f32 v4, -v4, v6, v7
	s_wait_alu 0xfffd
	v_div_fmas_f32 v4, v4, v5, v6
	v_mov_b32_e32 v6, 0
	s_delay_alu instid0(VALU_DEP_2) | instskip(NEXT) | instid1(VALU_DEP_1)
	v_div_fixup_f32 v3, v4, s1, v3
	v_cvt_f16_f32_e32 v3, v3
	s_delay_alu instid0(VALU_DEP_1) | instskip(SKIP_1) | instid1(VALU_DEP_2)
	v_cvt_f32_f16_e32 v4, v3
	v_ashrrev_i32_e32 v3, 31, v2
	v_med3_num_f32 v5, v4, s8, 0xc3e00000
	v_cmp_nlg_f32_e64 s0, 0x7f800000, |v4|
	s_delay_alu instid0(VALU_DEP_3) | instskip(SKIP_1) | instid1(VALU_DEP_2)
	v_cmp_le_i64_e32 vcc_lo, s[2:3], v[2:3]
	s_wait_alu 0xf1ff
	v_cndmask_b32_e64 v7, v5, v4, s0
	v_add_co_u32 v4, s0, s6, v0
	s_wait_alu 0xf1ff
	v_add_co_ci_u32_e64 v5, null, s7, v1, s0
	v_dual_mov_b32 v0, v2 :: v_dual_mov_b32 v1, v3
	v_cvt_pk_fp8_f32 v6, v7, v7
	v_add_nc_u32_e32 v2, s12, v2
	s_or_b32 s9, vcc_lo, s9
	global_store_b8 v[4:5], v6, off
	s_wait_alu 0xfffe
	s_and_not1_b32 exec_lo, exec_lo, s9
	s_cbranch_execnz .LBB35_2
.LBB35_3:
	s_endpgm
	.section	.rodata,"a",@progbits
	.p2align	6, 0x0
	.amdhsa_kernel _ZN4vllm18convert_fp8_kernelIhtLNS_18Fp8KVCacheDataTypeE1EEEvPKT0_PT_fl
		.amdhsa_group_segment_fixed_size 0
		.amdhsa_private_segment_fixed_size 0
		.amdhsa_kernarg_size 288
		.amdhsa_user_sgpr_count 2
		.amdhsa_user_sgpr_dispatch_ptr 0
		.amdhsa_user_sgpr_queue_ptr 0
		.amdhsa_user_sgpr_kernarg_segment_ptr 1
		.amdhsa_user_sgpr_dispatch_id 0
		.amdhsa_user_sgpr_private_segment_size 0
		.amdhsa_wavefront_size32 1
		.amdhsa_uses_dynamic_stack 0
		.amdhsa_enable_private_segment 0
		.amdhsa_system_sgpr_workgroup_id_x 1
		.amdhsa_system_sgpr_workgroup_id_y 0
		.amdhsa_system_sgpr_workgroup_id_z 0
		.amdhsa_system_sgpr_workgroup_info 0
		.amdhsa_system_vgpr_workitem_id 0
		.amdhsa_next_free_vgpr 9
		.amdhsa_next_free_sgpr 13
		.amdhsa_reserve_vcc 1
		.amdhsa_float_round_mode_32 0
		.amdhsa_float_round_mode_16_64 0
		.amdhsa_float_denorm_mode_32 3
		.amdhsa_float_denorm_mode_16_64 3
		.amdhsa_fp16_overflow 0
		.amdhsa_workgroup_processor_mode 1
		.amdhsa_memory_ordered 1
		.amdhsa_forward_progress 1
		.amdhsa_inst_pref_size 4
		.amdhsa_round_robin_scheduling 0
		.amdhsa_exception_fp_ieee_invalid_op 0
		.amdhsa_exception_fp_denorm_src 0
		.amdhsa_exception_fp_ieee_div_zero 0
		.amdhsa_exception_fp_ieee_overflow 0
		.amdhsa_exception_fp_ieee_underflow 0
		.amdhsa_exception_fp_ieee_inexact 0
		.amdhsa_exception_int_div_zero 0
	.end_amdhsa_kernel
	.section	.text._ZN4vllm18convert_fp8_kernelIhtLNS_18Fp8KVCacheDataTypeE1EEEvPKT0_PT_fl,"axG",@progbits,_ZN4vllm18convert_fp8_kernelIhtLNS_18Fp8KVCacheDataTypeE1EEEvPKT0_PT_fl,comdat
.Lfunc_end35:
	.size	_ZN4vllm18convert_fp8_kernelIhtLNS_18Fp8KVCacheDataTypeE1EEEvPKT0_PT_fl, .Lfunc_end35-_ZN4vllm18convert_fp8_kernelIhtLNS_18Fp8KVCacheDataTypeE1EEEvPKT0_PT_fl
                                        ; -- End function
	.set _ZN4vllm18convert_fp8_kernelIhtLNS_18Fp8KVCacheDataTypeE1EEEvPKT0_PT_fl.num_vgpr, 9
	.set _ZN4vllm18convert_fp8_kernelIhtLNS_18Fp8KVCacheDataTypeE1EEEvPKT0_PT_fl.num_agpr, 0
	.set _ZN4vllm18convert_fp8_kernelIhtLNS_18Fp8KVCacheDataTypeE1EEEvPKT0_PT_fl.numbered_sgpr, 13
	.set _ZN4vllm18convert_fp8_kernelIhtLNS_18Fp8KVCacheDataTypeE1EEEvPKT0_PT_fl.num_named_barrier, 0
	.set _ZN4vllm18convert_fp8_kernelIhtLNS_18Fp8KVCacheDataTypeE1EEEvPKT0_PT_fl.private_seg_size, 0
	.set _ZN4vllm18convert_fp8_kernelIhtLNS_18Fp8KVCacheDataTypeE1EEEvPKT0_PT_fl.uses_vcc, 1
	.set _ZN4vllm18convert_fp8_kernelIhtLNS_18Fp8KVCacheDataTypeE1EEEvPKT0_PT_fl.uses_flat_scratch, 0
	.set _ZN4vllm18convert_fp8_kernelIhtLNS_18Fp8KVCacheDataTypeE1EEEvPKT0_PT_fl.has_dyn_sized_stack, 0
	.set _ZN4vllm18convert_fp8_kernelIhtLNS_18Fp8KVCacheDataTypeE1EEEvPKT0_PT_fl.has_recursion, 0
	.set _ZN4vllm18convert_fp8_kernelIhtLNS_18Fp8KVCacheDataTypeE1EEEvPKT0_PT_fl.has_indirect_call, 0
	.section	.AMDGPU.csdata,"",@progbits
; Kernel info:
; codeLenInByte = 404
; TotalNumSgprs: 15
; NumVgprs: 9
; ScratchSize: 0
; MemoryBound: 0
; FloatMode: 240
; IeeeMode: 1
; LDSByteSize: 0 bytes/workgroup (compile time only)
; SGPRBlocks: 0
; VGPRBlocks: 1
; NumSGPRsForWavesPerEU: 15
; NumVGPRsForWavesPerEU: 9
; Occupancy: 16
; WaveLimiterHint : 0
; COMPUTE_PGM_RSRC2:SCRATCH_EN: 0
; COMPUTE_PGM_RSRC2:USER_SGPR: 2
; COMPUTE_PGM_RSRC2:TRAP_HANDLER: 0
; COMPUTE_PGM_RSRC2:TGID_X_EN: 1
; COMPUTE_PGM_RSRC2:TGID_Y_EN: 0
; COMPUTE_PGM_RSRC2:TGID_Z_EN: 0
; COMPUTE_PGM_RSRC2:TIDIG_COMP_CNT: 0
	.section	.text._ZN4vllm18convert_fp8_kernelIh14__hip_bfloat16LNS_18Fp8KVCacheDataTypeE1EEEvPKT0_PT_fl,"axG",@progbits,_ZN4vllm18convert_fp8_kernelIh14__hip_bfloat16LNS_18Fp8KVCacheDataTypeE1EEEvPKT0_PT_fl,comdat
	.protected	_ZN4vllm18convert_fp8_kernelIh14__hip_bfloat16LNS_18Fp8KVCacheDataTypeE1EEEvPKT0_PT_fl ; -- Begin function _ZN4vllm18convert_fp8_kernelIh14__hip_bfloat16LNS_18Fp8KVCacheDataTypeE1EEEvPKT0_PT_fl
	.globl	_ZN4vllm18convert_fp8_kernelIh14__hip_bfloat16LNS_18Fp8KVCacheDataTypeE1EEEvPKT0_PT_fl
	.p2align	8
	.type	_ZN4vllm18convert_fp8_kernelIh14__hip_bfloat16LNS_18Fp8KVCacheDataTypeE1EEEvPKT0_PT_fl,@function
_ZN4vllm18convert_fp8_kernelIh14__hip_bfloat16LNS_18Fp8KVCacheDataTypeE1EEEvPKT0_PT_fl: ; @_ZN4vllm18convert_fp8_kernelIh14__hip_bfloat16LNS_18Fp8KVCacheDataTypeE1EEEvPKT0_PT_fl
; %bb.0:
	s_load_b64 s[2:3], s[0:1], 0x18
	v_mov_b32_e32 v1, 0
	s_mov_b32 s4, exec_lo
	s_wait_kmcnt 0x0
	s_delay_alu instid0(VALU_DEP_1)
	v_cmpx_gt_i64_e64 s[2:3], v[0:1]
	s_cbranch_execz .LBB36_3
; %bb.1:
	s_clause 0x2
	s_load_b32 s9, s[0:1], 0x2c
	s_load_b128 s[4:7], s[0:1], 0x0
	s_load_b32 s1, s[0:1], 0x10
	s_mov_b32 s8, ttmp9
	s_wait_kmcnt 0x0
	s_and_b32 s12, s9, 0xffff
	s_mov_b32 s9, 0
	v_add_nc_u32_e32 v2, s12, v0
	s_mul_u64 s[10:11], s[2:3], s[8:9]
	s_mov_b32 s8, 0x43e00000
.LBB36_2:                               ; =>This Inner Loop Header: Depth=1
	v_add_co_u32 v0, vcc_lo, v0, s10
	s_wait_alu 0xfffd
	v_add_co_ci_u32_e64 v1, null, s11, v1, vcc_lo
	s_delay_alu instid0(VALU_DEP_1) | instskip(NEXT) | instid1(VALU_DEP_1)
	v_lshlrev_b64_e32 v[3:4], 1, v[0:1]
	v_add_co_u32 v3, vcc_lo, s4, v3
	s_wait_alu 0xfffd
	s_delay_alu instid0(VALU_DEP_2) | instskip(SKIP_3) | instid1(VALU_DEP_1)
	v_add_co_ci_u32_e64 v4, null, s5, v4, vcc_lo
	global_load_u16 v3, v[3:4], off
	s_wait_loadcnt 0x0
	v_lshlrev_b32_e32 v3, 16, v3
	v_div_scale_f32 v4, null, s1, s1, v3
	v_div_scale_f32 v7, vcc_lo, v3, s1, v3
	s_delay_alu instid0(VALU_DEP_2) | instskip(NEXT) | instid1(TRANS32_DEP_1)
	v_rcp_f32_e32 v5, v4
	v_fma_f32 v6, -v4, v5, 1.0
	s_delay_alu instid0(VALU_DEP_1) | instskip(NEXT) | instid1(VALU_DEP_1)
	v_fmac_f32_e32 v5, v6, v5
	v_mul_f32_e32 v6, v7, v5
	s_delay_alu instid0(VALU_DEP_1) | instskip(NEXT) | instid1(VALU_DEP_1)
	v_fma_f32 v8, -v4, v6, v7
	v_fmac_f32_e32 v6, v8, v5
	s_delay_alu instid0(VALU_DEP_1) | instskip(SKIP_1) | instid1(VALU_DEP_1)
	v_fma_f32 v4, -v4, v6, v7
	s_wait_alu 0xfffd
	v_div_fmas_f32 v4, v4, v5, v6
	v_mov_b32_e32 v6, 0
	s_delay_alu instid0(VALU_DEP_2) | instskip(SKIP_1) | instid1(VALU_DEP_2)
	v_div_fixup_f32 v4, v4, s1, v3
	v_ashrrev_i32_e32 v3, 31, v2
	v_med3_num_f32 v5, v4, s8, 0xc3e00000
	v_cmp_nlg_f32_e64 s0, 0x7f800000, |v4|
	s_delay_alu instid0(VALU_DEP_3) | instskip(SKIP_1) | instid1(VALU_DEP_2)
	v_cmp_le_i64_e32 vcc_lo, s[2:3], v[2:3]
	s_wait_alu 0xf1ff
	v_cndmask_b32_e64 v7, v5, v4, s0
	v_add_co_u32 v4, s0, s6, v0
	s_wait_alu 0xf1ff
	v_add_co_ci_u32_e64 v5, null, s7, v1, s0
	v_dual_mov_b32 v0, v2 :: v_dual_mov_b32 v1, v3
	v_cvt_pk_fp8_f32 v6, v7, v7
	v_add_nc_u32_e32 v2, s12, v2
	s_or_b32 s9, vcc_lo, s9
	global_store_b8 v[4:5], v6, off
	s_wait_alu 0xfffe
	s_and_not1_b32 exec_lo, exec_lo, s9
	s_cbranch_execnz .LBB36_2
.LBB36_3:
	s_endpgm
	.section	.rodata,"a",@progbits
	.p2align	6, 0x0
	.amdhsa_kernel _ZN4vllm18convert_fp8_kernelIh14__hip_bfloat16LNS_18Fp8KVCacheDataTypeE1EEEvPKT0_PT_fl
		.amdhsa_group_segment_fixed_size 0
		.amdhsa_private_segment_fixed_size 0
		.amdhsa_kernarg_size 288
		.amdhsa_user_sgpr_count 2
		.amdhsa_user_sgpr_dispatch_ptr 0
		.amdhsa_user_sgpr_queue_ptr 0
		.amdhsa_user_sgpr_kernarg_segment_ptr 1
		.amdhsa_user_sgpr_dispatch_id 0
		.amdhsa_user_sgpr_private_segment_size 0
		.amdhsa_wavefront_size32 1
		.amdhsa_uses_dynamic_stack 0
		.amdhsa_enable_private_segment 0
		.amdhsa_system_sgpr_workgroup_id_x 1
		.amdhsa_system_sgpr_workgroup_id_y 0
		.amdhsa_system_sgpr_workgroup_id_z 0
		.amdhsa_system_sgpr_workgroup_info 0
		.amdhsa_system_vgpr_workitem_id 0
		.amdhsa_next_free_vgpr 9
		.amdhsa_next_free_sgpr 13
		.amdhsa_reserve_vcc 1
		.amdhsa_float_round_mode_32 0
		.amdhsa_float_round_mode_16_64 0
		.amdhsa_float_denorm_mode_32 3
		.amdhsa_float_denorm_mode_16_64 3
		.amdhsa_fp16_overflow 0
		.amdhsa_workgroup_processor_mode 1
		.amdhsa_memory_ordered 1
		.amdhsa_forward_progress 1
		.amdhsa_inst_pref_size 4
		.amdhsa_round_robin_scheduling 0
		.amdhsa_exception_fp_ieee_invalid_op 0
		.amdhsa_exception_fp_denorm_src 0
		.amdhsa_exception_fp_ieee_div_zero 0
		.amdhsa_exception_fp_ieee_overflow 0
		.amdhsa_exception_fp_ieee_underflow 0
		.amdhsa_exception_fp_ieee_inexact 0
		.amdhsa_exception_int_div_zero 0
	.end_amdhsa_kernel
	.section	.text._ZN4vllm18convert_fp8_kernelIh14__hip_bfloat16LNS_18Fp8KVCacheDataTypeE1EEEvPKT0_PT_fl,"axG",@progbits,_ZN4vllm18convert_fp8_kernelIh14__hip_bfloat16LNS_18Fp8KVCacheDataTypeE1EEEvPKT0_PT_fl,comdat
.Lfunc_end36:
	.size	_ZN4vllm18convert_fp8_kernelIh14__hip_bfloat16LNS_18Fp8KVCacheDataTypeE1EEEvPKT0_PT_fl, .Lfunc_end36-_ZN4vllm18convert_fp8_kernelIh14__hip_bfloat16LNS_18Fp8KVCacheDataTypeE1EEEvPKT0_PT_fl
                                        ; -- End function
	.set _ZN4vllm18convert_fp8_kernelIh14__hip_bfloat16LNS_18Fp8KVCacheDataTypeE1EEEvPKT0_PT_fl.num_vgpr, 9
	.set _ZN4vllm18convert_fp8_kernelIh14__hip_bfloat16LNS_18Fp8KVCacheDataTypeE1EEEvPKT0_PT_fl.num_agpr, 0
	.set _ZN4vllm18convert_fp8_kernelIh14__hip_bfloat16LNS_18Fp8KVCacheDataTypeE1EEEvPKT0_PT_fl.numbered_sgpr, 13
	.set _ZN4vllm18convert_fp8_kernelIh14__hip_bfloat16LNS_18Fp8KVCacheDataTypeE1EEEvPKT0_PT_fl.num_named_barrier, 0
	.set _ZN4vllm18convert_fp8_kernelIh14__hip_bfloat16LNS_18Fp8KVCacheDataTypeE1EEEvPKT0_PT_fl.private_seg_size, 0
	.set _ZN4vllm18convert_fp8_kernelIh14__hip_bfloat16LNS_18Fp8KVCacheDataTypeE1EEEvPKT0_PT_fl.uses_vcc, 1
	.set _ZN4vllm18convert_fp8_kernelIh14__hip_bfloat16LNS_18Fp8KVCacheDataTypeE1EEEvPKT0_PT_fl.uses_flat_scratch, 0
	.set _ZN4vllm18convert_fp8_kernelIh14__hip_bfloat16LNS_18Fp8KVCacheDataTypeE1EEEvPKT0_PT_fl.has_dyn_sized_stack, 0
	.set _ZN4vllm18convert_fp8_kernelIh14__hip_bfloat16LNS_18Fp8KVCacheDataTypeE1EEEvPKT0_PT_fl.has_recursion, 0
	.set _ZN4vllm18convert_fp8_kernelIh14__hip_bfloat16LNS_18Fp8KVCacheDataTypeE1EEEvPKT0_PT_fl.has_indirect_call, 0
	.section	.AMDGPU.csdata,"",@progbits
; Kernel info:
; codeLenInByte = 392
; TotalNumSgprs: 15
; NumVgprs: 9
; ScratchSize: 0
; MemoryBound: 0
; FloatMode: 240
; IeeeMode: 1
; LDSByteSize: 0 bytes/workgroup (compile time only)
; SGPRBlocks: 0
; VGPRBlocks: 1
; NumSGPRsForWavesPerEU: 15
; NumVGPRsForWavesPerEU: 9
; Occupancy: 16
; WaveLimiterHint : 0
; COMPUTE_PGM_RSRC2:SCRATCH_EN: 0
; COMPUTE_PGM_RSRC2:USER_SGPR: 2
; COMPUTE_PGM_RSRC2:TRAP_HANDLER: 0
; COMPUTE_PGM_RSRC2:TGID_X_EN: 1
; COMPUTE_PGM_RSRC2:TGID_Y_EN: 0
; COMPUTE_PGM_RSRC2:TGID_Z_EN: 0
; COMPUTE_PGM_RSRC2:TIDIG_COMP_CNT: 0
	.section	.text._ZN4vllm18convert_fp8_kernelIfhLNS_18Fp8KVCacheDataTypeE1EEEvPKT0_PT_fl,"axG",@progbits,_ZN4vllm18convert_fp8_kernelIfhLNS_18Fp8KVCacheDataTypeE1EEEvPKT0_PT_fl,comdat
	.protected	_ZN4vllm18convert_fp8_kernelIfhLNS_18Fp8KVCacheDataTypeE1EEEvPKT0_PT_fl ; -- Begin function _ZN4vllm18convert_fp8_kernelIfhLNS_18Fp8KVCacheDataTypeE1EEEvPKT0_PT_fl
	.globl	_ZN4vllm18convert_fp8_kernelIfhLNS_18Fp8KVCacheDataTypeE1EEEvPKT0_PT_fl
	.p2align	8
	.type	_ZN4vllm18convert_fp8_kernelIfhLNS_18Fp8KVCacheDataTypeE1EEEvPKT0_PT_fl,@function
_ZN4vllm18convert_fp8_kernelIfhLNS_18Fp8KVCacheDataTypeE1EEEvPKT0_PT_fl: ; @_ZN4vllm18convert_fp8_kernelIfhLNS_18Fp8KVCacheDataTypeE1EEEvPKT0_PT_fl
; %bb.0:
	s_load_b64 s[2:3], s[0:1], 0x18
	v_mov_b32_e32 v1, 0
	s_mov_b32 s4, exec_lo
	s_wait_kmcnt 0x0
	s_delay_alu instid0(VALU_DEP_1)
	v_cmpx_gt_i64_e64 s[2:3], v[0:1]
	s_cbranch_execz .LBB37_3
; %bb.1:
	s_clause 0x2
	s_load_b32 s9, s[0:1], 0x2c
	s_load_b128 s[4:7], s[0:1], 0x0
	s_load_b32 s1, s[0:1], 0x10
	s_mov_b32 s8, ttmp9
	s_wait_kmcnt 0x0
	s_and_b32 s12, s9, 0xffff
	s_mov_b32 s9, 0
	v_add_nc_u32_e32 v2, s12, v0
	s_mul_u64 s[10:11], s[2:3], s[8:9]
.LBB37_2:                               ; =>This Inner Loop Header: Depth=1
	s_delay_alu instid0(SALU_CYCLE_1) | instskip(SKIP_2) | instid1(VALU_DEP_2)
	v_add_co_u32 v0, vcc_lo, v0, s10
	s_wait_alu 0xfffd
	v_add_co_ci_u32_e64 v1, null, s11, v1, vcc_lo
	v_add_co_u32 v3, vcc_lo, s4, v0
	s_wait_alu 0xfffd
	s_delay_alu instid0(VALU_DEP_2) | instskip(SKIP_3) | instid1(VALU_DEP_2)
	v_add_co_ci_u32_e64 v4, null, s5, v1, vcc_lo
	global_load_u8 v6, v[3:4], off
	v_ashrrev_i32_e32 v3, 31, v2
	v_lshlrev_b64_e32 v[4:5], 2, v[0:1]
	v_dual_mov_b32 v0, v2 :: v_dual_mov_b32 v1, v3
	v_cmp_le_i64_e32 vcc_lo, s[2:3], v[2:3]
	s_delay_alu instid0(VALU_DEP_3) | instskip(SKIP_1) | instid1(VALU_DEP_4)
	v_add_co_u32 v3, s0, s6, v4
	s_wait_alu 0xf1ff
	v_add_co_ci_u32_e64 v4, null, s7, v5, s0
	v_add_nc_u32_e32 v2, s12, v2
	s_or_b32 s9, vcc_lo, s9
	s_wait_loadcnt 0x0
	v_cvt_f32_fp8_e32 v6, v6
	s_delay_alu instid0(VALU_DEP_1)
	v_mul_f32_e32 v5, s1, v6
	global_store_b32 v[3:4], v5, off
	s_and_not1_b32 exec_lo, exec_lo, s9
	s_cbranch_execnz .LBB37_2
.LBB37_3:
	s_endpgm
	.section	.rodata,"a",@progbits
	.p2align	6, 0x0
	.amdhsa_kernel _ZN4vllm18convert_fp8_kernelIfhLNS_18Fp8KVCacheDataTypeE1EEEvPKT0_PT_fl
		.amdhsa_group_segment_fixed_size 0
		.amdhsa_private_segment_fixed_size 0
		.amdhsa_kernarg_size 288
		.amdhsa_user_sgpr_count 2
		.amdhsa_user_sgpr_dispatch_ptr 0
		.amdhsa_user_sgpr_queue_ptr 0
		.amdhsa_user_sgpr_kernarg_segment_ptr 1
		.amdhsa_user_sgpr_dispatch_id 0
		.amdhsa_user_sgpr_private_segment_size 0
		.amdhsa_wavefront_size32 1
		.amdhsa_uses_dynamic_stack 0
		.amdhsa_enable_private_segment 0
		.amdhsa_system_sgpr_workgroup_id_x 1
		.amdhsa_system_sgpr_workgroup_id_y 0
		.amdhsa_system_sgpr_workgroup_id_z 0
		.amdhsa_system_sgpr_workgroup_info 0
		.amdhsa_system_vgpr_workitem_id 0
		.amdhsa_next_free_vgpr 7
		.amdhsa_next_free_sgpr 13
		.amdhsa_reserve_vcc 1
		.amdhsa_float_round_mode_32 0
		.amdhsa_float_round_mode_16_64 0
		.amdhsa_float_denorm_mode_32 3
		.amdhsa_float_denorm_mode_16_64 3
		.amdhsa_fp16_overflow 0
		.amdhsa_workgroup_processor_mode 1
		.amdhsa_memory_ordered 1
		.amdhsa_forward_progress 1
		.amdhsa_inst_pref_size 2
		.amdhsa_round_robin_scheduling 0
		.amdhsa_exception_fp_ieee_invalid_op 0
		.amdhsa_exception_fp_denorm_src 0
		.amdhsa_exception_fp_ieee_div_zero 0
		.amdhsa_exception_fp_ieee_overflow 0
		.amdhsa_exception_fp_ieee_underflow 0
		.amdhsa_exception_fp_ieee_inexact 0
		.amdhsa_exception_int_div_zero 0
	.end_amdhsa_kernel
	.section	.text._ZN4vllm18convert_fp8_kernelIfhLNS_18Fp8KVCacheDataTypeE1EEEvPKT0_PT_fl,"axG",@progbits,_ZN4vllm18convert_fp8_kernelIfhLNS_18Fp8KVCacheDataTypeE1EEEvPKT0_PT_fl,comdat
.Lfunc_end37:
	.size	_ZN4vllm18convert_fp8_kernelIfhLNS_18Fp8KVCacheDataTypeE1EEEvPKT0_PT_fl, .Lfunc_end37-_ZN4vllm18convert_fp8_kernelIfhLNS_18Fp8KVCacheDataTypeE1EEEvPKT0_PT_fl
                                        ; -- End function
	.set _ZN4vllm18convert_fp8_kernelIfhLNS_18Fp8KVCacheDataTypeE1EEEvPKT0_PT_fl.num_vgpr, 7
	.set _ZN4vllm18convert_fp8_kernelIfhLNS_18Fp8KVCacheDataTypeE1EEEvPKT0_PT_fl.num_agpr, 0
	.set _ZN4vllm18convert_fp8_kernelIfhLNS_18Fp8KVCacheDataTypeE1EEEvPKT0_PT_fl.numbered_sgpr, 13
	.set _ZN4vllm18convert_fp8_kernelIfhLNS_18Fp8KVCacheDataTypeE1EEEvPKT0_PT_fl.num_named_barrier, 0
	.set _ZN4vllm18convert_fp8_kernelIfhLNS_18Fp8KVCacheDataTypeE1EEEvPKT0_PT_fl.private_seg_size, 0
	.set _ZN4vllm18convert_fp8_kernelIfhLNS_18Fp8KVCacheDataTypeE1EEEvPKT0_PT_fl.uses_vcc, 1
	.set _ZN4vllm18convert_fp8_kernelIfhLNS_18Fp8KVCacheDataTypeE1EEEvPKT0_PT_fl.uses_flat_scratch, 0
	.set _ZN4vllm18convert_fp8_kernelIfhLNS_18Fp8KVCacheDataTypeE1EEEvPKT0_PT_fl.has_dyn_sized_stack, 0
	.set _ZN4vllm18convert_fp8_kernelIfhLNS_18Fp8KVCacheDataTypeE1EEEvPKT0_PT_fl.has_recursion, 0
	.set _ZN4vllm18convert_fp8_kernelIfhLNS_18Fp8KVCacheDataTypeE1EEEvPKT0_PT_fl.has_indirect_call, 0
	.section	.AMDGPU.csdata,"",@progbits
; Kernel info:
; codeLenInByte = 244
; TotalNumSgprs: 15
; NumVgprs: 7
; ScratchSize: 0
; MemoryBound: 0
; FloatMode: 240
; IeeeMode: 1
; LDSByteSize: 0 bytes/workgroup (compile time only)
; SGPRBlocks: 0
; VGPRBlocks: 0
; NumSGPRsForWavesPerEU: 15
; NumVGPRsForWavesPerEU: 7
; Occupancy: 16
; WaveLimiterHint : 0
; COMPUTE_PGM_RSRC2:SCRATCH_EN: 0
; COMPUTE_PGM_RSRC2:USER_SGPR: 2
; COMPUTE_PGM_RSRC2:TRAP_HANDLER: 0
; COMPUTE_PGM_RSRC2:TGID_X_EN: 1
; COMPUTE_PGM_RSRC2:TGID_Y_EN: 0
; COMPUTE_PGM_RSRC2:TGID_Z_EN: 0
; COMPUTE_PGM_RSRC2:TIDIG_COMP_CNT: 0
	.section	.text._ZN4vllm18convert_fp8_kernelIthLNS_18Fp8KVCacheDataTypeE1EEEvPKT0_PT_fl,"axG",@progbits,_ZN4vllm18convert_fp8_kernelIthLNS_18Fp8KVCacheDataTypeE1EEEvPKT0_PT_fl,comdat
	.protected	_ZN4vllm18convert_fp8_kernelIthLNS_18Fp8KVCacheDataTypeE1EEEvPKT0_PT_fl ; -- Begin function _ZN4vllm18convert_fp8_kernelIthLNS_18Fp8KVCacheDataTypeE1EEEvPKT0_PT_fl
	.globl	_ZN4vllm18convert_fp8_kernelIthLNS_18Fp8KVCacheDataTypeE1EEEvPKT0_PT_fl
	.p2align	8
	.type	_ZN4vllm18convert_fp8_kernelIthLNS_18Fp8KVCacheDataTypeE1EEEvPKT0_PT_fl,@function
_ZN4vllm18convert_fp8_kernelIthLNS_18Fp8KVCacheDataTypeE1EEEvPKT0_PT_fl: ; @_ZN4vllm18convert_fp8_kernelIthLNS_18Fp8KVCacheDataTypeE1EEEvPKT0_PT_fl
; %bb.0:
	s_load_b64 s[2:3], s[0:1], 0x18
	v_mov_b32_e32 v1, 0
	s_mov_b32 s4, exec_lo
	s_wait_kmcnt 0x0
	s_delay_alu instid0(VALU_DEP_1)
	v_cmpx_gt_i64_e64 s[2:3], v[0:1]
	s_cbranch_execz .LBB38_3
; %bb.1:
	s_clause 0x2
	s_load_b32 s9, s[0:1], 0x2c
	s_load_b128 s[4:7], s[0:1], 0x0
	s_load_b32 s1, s[0:1], 0x10
	s_mov_b32 s8, ttmp9
	s_wait_kmcnt 0x0
	s_and_b32 s12, s9, 0xffff
	s_mov_b32 s9, 0
	v_add_nc_u32_e32 v2, s12, v0
	s_mul_u64 s[10:11], s[2:3], s[8:9]
.LBB38_2:                               ; =>This Inner Loop Header: Depth=1
	s_delay_alu instid0(SALU_CYCLE_1) | instskip(SKIP_2) | instid1(VALU_DEP_2)
	v_add_co_u32 v0, vcc_lo, v0, s10
	s_wait_alu 0xfffd
	v_add_co_ci_u32_e64 v1, null, s11, v1, vcc_lo
	v_add_co_u32 v3, vcc_lo, s4, v0
	s_wait_alu 0xfffd
	s_delay_alu instid0(VALU_DEP_2) | instskip(SKIP_3) | instid1(VALU_DEP_2)
	v_add_co_ci_u32_e64 v4, null, s5, v1, vcc_lo
	global_load_u8 v6, v[3:4], off
	v_ashrrev_i32_e32 v3, 31, v2
	v_lshlrev_b64_e32 v[4:5], 1, v[0:1]
	v_dual_mov_b32 v0, v2 :: v_dual_mov_b32 v1, v3
	v_cmp_le_i64_e32 vcc_lo, s[2:3], v[2:3]
	s_delay_alu instid0(VALU_DEP_3) | instskip(SKIP_1) | instid1(VALU_DEP_4)
	v_add_co_u32 v3, s0, s6, v4
	s_wait_alu 0xf1ff
	v_add_co_ci_u32_e64 v4, null, s7, v5, s0
	v_add_nc_u32_e32 v2, s12, v2
	s_or_b32 s9, vcc_lo, s9
	s_wait_loadcnt 0x0
	v_cvt_f32_fp8_e32 v6, v6
	s_delay_alu instid0(VALU_DEP_1)
	v_fma_mixlo_f16 v5, s1, v6, 0
	global_store_b16 v[3:4], v5, off
	s_and_not1_b32 exec_lo, exec_lo, s9
	s_cbranch_execnz .LBB38_2
.LBB38_3:
	s_endpgm
	.section	.rodata,"a",@progbits
	.p2align	6, 0x0
	.amdhsa_kernel _ZN4vllm18convert_fp8_kernelIthLNS_18Fp8KVCacheDataTypeE1EEEvPKT0_PT_fl
		.amdhsa_group_segment_fixed_size 0
		.amdhsa_private_segment_fixed_size 0
		.amdhsa_kernarg_size 288
		.amdhsa_user_sgpr_count 2
		.amdhsa_user_sgpr_dispatch_ptr 0
		.amdhsa_user_sgpr_queue_ptr 0
		.amdhsa_user_sgpr_kernarg_segment_ptr 1
		.amdhsa_user_sgpr_dispatch_id 0
		.amdhsa_user_sgpr_private_segment_size 0
		.amdhsa_wavefront_size32 1
		.amdhsa_uses_dynamic_stack 0
		.amdhsa_enable_private_segment 0
		.amdhsa_system_sgpr_workgroup_id_x 1
		.amdhsa_system_sgpr_workgroup_id_y 0
		.amdhsa_system_sgpr_workgroup_id_z 0
		.amdhsa_system_sgpr_workgroup_info 0
		.amdhsa_system_vgpr_workitem_id 0
		.amdhsa_next_free_vgpr 7
		.amdhsa_next_free_sgpr 13
		.amdhsa_reserve_vcc 1
		.amdhsa_float_round_mode_32 0
		.amdhsa_float_round_mode_16_64 0
		.amdhsa_float_denorm_mode_32 3
		.amdhsa_float_denorm_mode_16_64 3
		.amdhsa_fp16_overflow 0
		.amdhsa_workgroup_processor_mode 1
		.amdhsa_memory_ordered 1
		.amdhsa_forward_progress 1
		.amdhsa_inst_pref_size 2
		.amdhsa_round_robin_scheduling 0
		.amdhsa_exception_fp_ieee_invalid_op 0
		.amdhsa_exception_fp_denorm_src 0
		.amdhsa_exception_fp_ieee_div_zero 0
		.amdhsa_exception_fp_ieee_overflow 0
		.amdhsa_exception_fp_ieee_underflow 0
		.amdhsa_exception_fp_ieee_inexact 0
		.amdhsa_exception_int_div_zero 0
	.end_amdhsa_kernel
	.section	.text._ZN4vllm18convert_fp8_kernelIthLNS_18Fp8KVCacheDataTypeE1EEEvPKT0_PT_fl,"axG",@progbits,_ZN4vllm18convert_fp8_kernelIthLNS_18Fp8KVCacheDataTypeE1EEEvPKT0_PT_fl,comdat
.Lfunc_end38:
	.size	_ZN4vllm18convert_fp8_kernelIthLNS_18Fp8KVCacheDataTypeE1EEEvPKT0_PT_fl, .Lfunc_end38-_ZN4vllm18convert_fp8_kernelIthLNS_18Fp8KVCacheDataTypeE1EEEvPKT0_PT_fl
                                        ; -- End function
	.set _ZN4vllm18convert_fp8_kernelIthLNS_18Fp8KVCacheDataTypeE1EEEvPKT0_PT_fl.num_vgpr, 7
	.set _ZN4vllm18convert_fp8_kernelIthLNS_18Fp8KVCacheDataTypeE1EEEvPKT0_PT_fl.num_agpr, 0
	.set _ZN4vllm18convert_fp8_kernelIthLNS_18Fp8KVCacheDataTypeE1EEEvPKT0_PT_fl.numbered_sgpr, 13
	.set _ZN4vllm18convert_fp8_kernelIthLNS_18Fp8KVCacheDataTypeE1EEEvPKT0_PT_fl.num_named_barrier, 0
	.set _ZN4vllm18convert_fp8_kernelIthLNS_18Fp8KVCacheDataTypeE1EEEvPKT0_PT_fl.private_seg_size, 0
	.set _ZN4vllm18convert_fp8_kernelIthLNS_18Fp8KVCacheDataTypeE1EEEvPKT0_PT_fl.uses_vcc, 1
	.set _ZN4vllm18convert_fp8_kernelIthLNS_18Fp8KVCacheDataTypeE1EEEvPKT0_PT_fl.uses_flat_scratch, 0
	.set _ZN4vllm18convert_fp8_kernelIthLNS_18Fp8KVCacheDataTypeE1EEEvPKT0_PT_fl.has_dyn_sized_stack, 0
	.set _ZN4vllm18convert_fp8_kernelIthLNS_18Fp8KVCacheDataTypeE1EEEvPKT0_PT_fl.has_recursion, 0
	.set _ZN4vllm18convert_fp8_kernelIthLNS_18Fp8KVCacheDataTypeE1EEEvPKT0_PT_fl.has_indirect_call, 0
	.section	.AMDGPU.csdata,"",@progbits
; Kernel info:
; codeLenInByte = 248
; TotalNumSgprs: 15
; NumVgprs: 7
; ScratchSize: 0
; MemoryBound: 0
; FloatMode: 240
; IeeeMode: 1
; LDSByteSize: 0 bytes/workgroup (compile time only)
; SGPRBlocks: 0
; VGPRBlocks: 0
; NumSGPRsForWavesPerEU: 15
; NumVGPRsForWavesPerEU: 7
; Occupancy: 16
; WaveLimiterHint : 0
; COMPUTE_PGM_RSRC2:SCRATCH_EN: 0
; COMPUTE_PGM_RSRC2:USER_SGPR: 2
; COMPUTE_PGM_RSRC2:TRAP_HANDLER: 0
; COMPUTE_PGM_RSRC2:TGID_X_EN: 1
; COMPUTE_PGM_RSRC2:TGID_Y_EN: 0
; COMPUTE_PGM_RSRC2:TGID_Z_EN: 0
; COMPUTE_PGM_RSRC2:TIDIG_COMP_CNT: 0
	.section	.text._ZN4vllm18convert_fp8_kernelI14__hip_bfloat16hLNS_18Fp8KVCacheDataTypeE1EEEvPKT0_PT_fl,"axG",@progbits,_ZN4vllm18convert_fp8_kernelI14__hip_bfloat16hLNS_18Fp8KVCacheDataTypeE1EEEvPKT0_PT_fl,comdat
	.protected	_ZN4vllm18convert_fp8_kernelI14__hip_bfloat16hLNS_18Fp8KVCacheDataTypeE1EEEvPKT0_PT_fl ; -- Begin function _ZN4vllm18convert_fp8_kernelI14__hip_bfloat16hLNS_18Fp8KVCacheDataTypeE1EEEvPKT0_PT_fl
	.globl	_ZN4vllm18convert_fp8_kernelI14__hip_bfloat16hLNS_18Fp8KVCacheDataTypeE1EEEvPKT0_PT_fl
	.p2align	8
	.type	_ZN4vllm18convert_fp8_kernelI14__hip_bfloat16hLNS_18Fp8KVCacheDataTypeE1EEEvPKT0_PT_fl,@function
_ZN4vllm18convert_fp8_kernelI14__hip_bfloat16hLNS_18Fp8KVCacheDataTypeE1EEEvPKT0_PT_fl: ; @_ZN4vllm18convert_fp8_kernelI14__hip_bfloat16hLNS_18Fp8KVCacheDataTypeE1EEEvPKT0_PT_fl
; %bb.0:
	s_load_b64 s[2:3], s[0:1], 0x18
	v_mov_b32_e32 v1, 0
	s_mov_b32 s4, exec_lo
	s_wait_kmcnt 0x0
	s_delay_alu instid0(VALU_DEP_1)
	v_cmpx_gt_i64_e64 s[2:3], v[0:1]
	s_cbranch_execz .LBB39_3
; %bb.1:
	s_clause 0x2
	s_load_b32 s9, s[0:1], 0x2c
	s_load_b128 s[4:7], s[0:1], 0x0
	s_load_b32 s1, s[0:1], 0x10
	s_mov_b32 s8, ttmp9
	s_wait_kmcnt 0x0
	s_and_b32 s12, s9, 0xffff
	s_mov_b32 s9, 0
	v_add_nc_u32_e32 v2, s12, v0
	s_mul_u64 s[10:11], s[2:3], s[8:9]
.LBB39_2:                               ; =>This Inner Loop Header: Depth=1
	s_delay_alu instid0(SALU_CYCLE_1) | instskip(SKIP_2) | instid1(VALU_DEP_2)
	v_add_co_u32 v0, vcc_lo, v0, s10
	s_wait_alu 0xfffd
	v_add_co_ci_u32_e64 v1, null, s11, v1, vcc_lo
	v_add_co_u32 v3, vcc_lo, s4, v0
	s_wait_alu 0xfffd
	s_delay_alu instid0(VALU_DEP_2) | instskip(SKIP_4) | instid1(VALU_DEP_1)
	v_add_co_ci_u32_e64 v4, null, s5, v1, vcc_lo
	global_load_u8 v3, v[3:4], off
	v_lshlrev_b64_e32 v[4:5], 1, v[0:1]
	s_wait_loadcnt 0x0
	v_cvt_f32_fp8_e32 v3, v3
	v_mul_f32_e32 v6, s1, v3
	v_ashrrev_i32_e32 v3, 31, v2
	s_delay_alu instid0(VALU_DEP_1) | instskip(NEXT) | instid1(VALU_DEP_3)
	v_dual_mov_b32 v0, v2 :: v_dual_mov_b32 v1, v3
	v_bfe_u32 v7, v6, 16, 1
	v_cmp_le_i64_e32 vcc_lo, s[2:3], v[2:3]
	v_add_co_u32 v3, s0, s6, v4
	v_or_b32_e32 v8, 0x400000, v6
	s_delay_alu instid0(VALU_DEP_4)
	v_add3_u32 v7, v7, v6, 0x7fff
	s_wait_alu 0xf1ff
	v_add_co_ci_u32_e64 v4, null, s7, v5, s0
	v_cmp_u_f32_e64 s0, v6, v6
	v_add_nc_u32_e32 v2, s12, v2
	s_or_b32 s9, vcc_lo, s9
	s_wait_alu 0xf1ff
	v_cndmask_b32_e64 v5, v7, v8, s0
	global_store_d16_hi_b16 v[3:4], v5, off
	s_and_not1_b32 exec_lo, exec_lo, s9
	s_cbranch_execnz .LBB39_2
.LBB39_3:
	s_endpgm
	.section	.rodata,"a",@progbits
	.p2align	6, 0x0
	.amdhsa_kernel _ZN4vllm18convert_fp8_kernelI14__hip_bfloat16hLNS_18Fp8KVCacheDataTypeE1EEEvPKT0_PT_fl
		.amdhsa_group_segment_fixed_size 0
		.amdhsa_private_segment_fixed_size 0
		.amdhsa_kernarg_size 288
		.amdhsa_user_sgpr_count 2
		.amdhsa_user_sgpr_dispatch_ptr 0
		.amdhsa_user_sgpr_queue_ptr 0
		.amdhsa_user_sgpr_kernarg_segment_ptr 1
		.amdhsa_user_sgpr_dispatch_id 0
		.amdhsa_user_sgpr_private_segment_size 0
		.amdhsa_wavefront_size32 1
		.amdhsa_uses_dynamic_stack 0
		.amdhsa_enable_private_segment 0
		.amdhsa_system_sgpr_workgroup_id_x 1
		.amdhsa_system_sgpr_workgroup_id_y 0
		.amdhsa_system_sgpr_workgroup_id_z 0
		.amdhsa_system_sgpr_workgroup_info 0
		.amdhsa_system_vgpr_workitem_id 0
		.amdhsa_next_free_vgpr 9
		.amdhsa_next_free_sgpr 13
		.amdhsa_reserve_vcc 1
		.amdhsa_float_round_mode_32 0
		.amdhsa_float_round_mode_16_64 0
		.amdhsa_float_denorm_mode_32 3
		.amdhsa_float_denorm_mode_16_64 3
		.amdhsa_fp16_overflow 0
		.amdhsa_workgroup_processor_mode 1
		.amdhsa_memory_ordered 1
		.amdhsa_forward_progress 1
		.amdhsa_inst_pref_size 3
		.amdhsa_round_robin_scheduling 0
		.amdhsa_exception_fp_ieee_invalid_op 0
		.amdhsa_exception_fp_denorm_src 0
		.amdhsa_exception_fp_ieee_div_zero 0
		.amdhsa_exception_fp_ieee_overflow 0
		.amdhsa_exception_fp_ieee_underflow 0
		.amdhsa_exception_fp_ieee_inexact 0
		.amdhsa_exception_int_div_zero 0
	.end_amdhsa_kernel
	.section	.text._ZN4vllm18convert_fp8_kernelI14__hip_bfloat16hLNS_18Fp8KVCacheDataTypeE1EEEvPKT0_PT_fl,"axG",@progbits,_ZN4vllm18convert_fp8_kernelI14__hip_bfloat16hLNS_18Fp8KVCacheDataTypeE1EEEvPKT0_PT_fl,comdat
.Lfunc_end39:
	.size	_ZN4vllm18convert_fp8_kernelI14__hip_bfloat16hLNS_18Fp8KVCacheDataTypeE1EEEvPKT0_PT_fl, .Lfunc_end39-_ZN4vllm18convert_fp8_kernelI14__hip_bfloat16hLNS_18Fp8KVCacheDataTypeE1EEEvPKT0_PT_fl
                                        ; -- End function
	.set _ZN4vllm18convert_fp8_kernelI14__hip_bfloat16hLNS_18Fp8KVCacheDataTypeE1EEEvPKT0_PT_fl.num_vgpr, 9
	.set _ZN4vllm18convert_fp8_kernelI14__hip_bfloat16hLNS_18Fp8KVCacheDataTypeE1EEEvPKT0_PT_fl.num_agpr, 0
	.set _ZN4vllm18convert_fp8_kernelI14__hip_bfloat16hLNS_18Fp8KVCacheDataTypeE1EEEvPKT0_PT_fl.numbered_sgpr, 13
	.set _ZN4vllm18convert_fp8_kernelI14__hip_bfloat16hLNS_18Fp8KVCacheDataTypeE1EEEvPKT0_PT_fl.num_named_barrier, 0
	.set _ZN4vllm18convert_fp8_kernelI14__hip_bfloat16hLNS_18Fp8KVCacheDataTypeE1EEEvPKT0_PT_fl.private_seg_size, 0
	.set _ZN4vllm18convert_fp8_kernelI14__hip_bfloat16hLNS_18Fp8KVCacheDataTypeE1EEEvPKT0_PT_fl.uses_vcc, 1
	.set _ZN4vllm18convert_fp8_kernelI14__hip_bfloat16hLNS_18Fp8KVCacheDataTypeE1EEEvPKT0_PT_fl.uses_flat_scratch, 0
	.set _ZN4vllm18convert_fp8_kernelI14__hip_bfloat16hLNS_18Fp8KVCacheDataTypeE1EEEvPKT0_PT_fl.has_dyn_sized_stack, 0
	.set _ZN4vllm18convert_fp8_kernelI14__hip_bfloat16hLNS_18Fp8KVCacheDataTypeE1EEEvPKT0_PT_fl.has_recursion, 0
	.set _ZN4vllm18convert_fp8_kernelI14__hip_bfloat16hLNS_18Fp8KVCacheDataTypeE1EEEvPKT0_PT_fl.has_indirect_call, 0
	.section	.AMDGPU.csdata,"",@progbits
; Kernel info:
; codeLenInByte = 292
; TotalNumSgprs: 15
; NumVgprs: 9
; ScratchSize: 0
; MemoryBound: 0
; FloatMode: 240
; IeeeMode: 1
; LDSByteSize: 0 bytes/workgroup (compile time only)
; SGPRBlocks: 0
; VGPRBlocks: 1
; NumSGPRsForWavesPerEU: 15
; NumVGPRsForWavesPerEU: 9
; Occupancy: 16
; WaveLimiterHint : 0
; COMPUTE_PGM_RSRC2:SCRATCH_EN: 0
; COMPUTE_PGM_RSRC2:USER_SGPR: 2
; COMPUTE_PGM_RSRC2:TRAP_HANDLER: 0
; COMPUTE_PGM_RSRC2:TGID_X_EN: 1
; COMPUTE_PGM_RSRC2:TGID_Y_EN: 0
; COMPUTE_PGM_RSRC2:TGID_Z_EN: 0
; COMPUTE_PGM_RSRC2:TIDIG_COMP_CNT: 0
	.section	.text._ZN4vllm30gather_and_maybe_dequant_cacheIffLNS_18Fp8KVCacheDataTypeE0EEEvPKT0_PT_PKiS8_iillllPKfS8_,"axG",@progbits,_ZN4vllm30gather_and_maybe_dequant_cacheIffLNS_18Fp8KVCacheDataTypeE0EEEvPKT0_PT_PKiS8_iillllPKfS8_,comdat
	.protected	_ZN4vllm30gather_and_maybe_dequant_cacheIffLNS_18Fp8KVCacheDataTypeE0EEEvPKT0_PT_PKiS8_iillllPKfS8_ ; -- Begin function _ZN4vllm30gather_and_maybe_dequant_cacheIffLNS_18Fp8KVCacheDataTypeE0EEEvPKT0_PT_PKiS8_iillllPKfS8_
	.globl	_ZN4vllm30gather_and_maybe_dequant_cacheIffLNS_18Fp8KVCacheDataTypeE0EEEvPKT0_PT_PKiS8_iillllPKfS8_
	.p2align	8
	.type	_ZN4vllm30gather_and_maybe_dequant_cacheIffLNS_18Fp8KVCacheDataTypeE0EEEvPKT0_PT_PKiS8_iillllPKfS8_,@function
_ZN4vllm30gather_and_maybe_dequant_cacheIffLNS_18Fp8KVCacheDataTypeE0EEEvPKT0_PT_PKiS8_iillllPKfS8_: ; @_ZN4vllm30gather_and_maybe_dequant_cacheIffLNS_18Fp8KVCacheDataTypeE0EEEvPKT0_PT_PKiS8_iillllPKfS8_
; %bb.0:
	s_clause 0x1
	s_load_b128 s[12:15], s[0:1], 0x18
	s_load_b32 s16, s[0:1], 0x5c
	s_mov_b32 s3, 0
	s_mov_b32 s24, ttmp9
	s_mov_b32 s25, s3
	s_delay_alu instid0(SALU_CYCLE_1)
	s_lshl_b64 s[4:5], s[24:25], 2
	s_wait_kmcnt 0x0
	s_abs_i32 s8, s14
	s_add_nc_u64 s[6:7], s[12:13], s[4:5]
	s_cvt_f32_u32 s2, s8
	s_load_b64 s[26:27], s[6:7], 0x0
	s_sub_co_i32 s6, 0, s8
	s_ashr_i32 s10, s14, 31
	v_rcp_iflag_f32_e32 v1, s2
	s_delay_alu instid0(TRANS32_DEP_1) | instskip(SKIP_3) | instid1(SALU_CYCLE_1)
	v_readfirstlane_b32 s2, v1
	s_mul_f32 s2, s2, 0x4f7ffffe
	s_wait_kmcnt 0x0
	s_sub_co_i32 s9, s27, s26
	s_add_co_i32 s7, s14, s9
	s_wait_alu 0xfffe
	s_cvt_u32_f32 s2, s2
	s_add_co_i32 s7, s7, -1
	s_delay_alu instid0(SALU_CYCLE_1)
	s_abs_i32 s11, s7
	s_wait_alu 0xfffe
	s_mul_i32 s6, s6, s2
	s_ashr_i32 s7, s7, 31
	s_mul_hi_u32 s6, s2, s6
	s_xor_b32 s7, s7, s10
	s_add_co_i32 s2, s2, s6
	s_wait_alu 0xfffe
	s_mul_hi_u32 s6, s11, s2
	s_delay_alu instid0(SALU_CYCLE_1) | instskip(NEXT) | instid1(SALU_CYCLE_1)
	s_mul_i32 s12, s6, s8
	s_sub_co_i32 s11, s11, s12
	s_add_co_i32 s12, s6, 1
	s_sub_co_i32 s13, s11, s8
	s_cmp_ge_u32 s11, s8
	s_cselect_b32 s6, s12, s6
	s_cselect_b32 s11, s13, s11
	s_add_co_i32 s12, s6, 1
	s_cmp_ge_u32 s11, s8
	s_cselect_b32 s6, s12, s6
	s_abs_i32 s12, s16
	s_xor_b32 s6, s6, s7
	s_cvt_f32_u32 s11, s12
	s_delay_alu instid0(SALU_CYCLE_3) | instskip(NEXT) | instid1(TRANS32_DEP_1)
	v_rcp_iflag_f32_e32 v1, s11
	v_readfirstlane_b32 s11, v1
	s_mul_f32 s11, s11, 0x4f7ffffe
	s_wait_alu 0xfffe
	s_delay_alu instid0(SALU_CYCLE_2)
	s_cvt_u32_f32 s13, s11
	s_sub_co_i32 s11, s6, s7
	s_sub_co_i32 s6, 0, s12
	s_wait_alu 0xfffe
	s_add_co_i32 s7, s16, s11
	s_mul_i32 s6, s6, s13
	s_add_co_i32 s7, s7, -1
	s_mul_hi_u32 s6, s13, s6
	s_abs_i32 s17, s7
	s_add_co_i32 s13, s13, s6
	s_xor_b32 s7, s7, s16
	s_mul_hi_u32 s6, s17, s13
	s_ashr_i32 s7, s7, 31
	s_mul_i32 s13, s6, s12
	s_add_co_i32 s16, s6, 1
	s_sub_co_i32 s13, s17, s13
	s_delay_alu instid0(SALU_CYCLE_1)
	s_sub_co_i32 s17, s13, s12
	s_cmp_ge_u32 s13, s12
	s_cselect_b32 s6, s16, s6
	s_cselect_b32 s13, s17, s13
	s_add_co_i32 s16, s6, 1
	s_cmp_ge_u32 s13, s12
	s_cselect_b32 s6, s16, s6
	s_delay_alu instid0(SALU_CYCLE_1) | instskip(NEXT) | instid1(SALU_CYCLE_1)
	s_xor_b32 s6, s6, s7
	s_sub_co_i32 s13, s6, s7
	s_delay_alu instid0(SALU_CYCLE_1) | instskip(NEXT) | instid1(SALU_CYCLE_1)
	s_mul_i32 s12, s13, ttmp7
	s_cmp_ge_i32 s12, s11
	s_cbranch_scc1 .LBB40_21
; %bb.1:
	s_load_b64 s[6:7], s[0:1], 0x50
	s_mov_b64 s[28:29], 0
	s_wait_kmcnt 0x0
	s_cmp_eq_u64 s[6:7], 0
	s_cbranch_scc1 .LBB40_3
; %bb.2:
	s_add_nc_u64 s[4:5], s[6:7], s[4:5]
	s_load_b32 s16, s[4:5], 0x0
	s_mov_b32 s5, 0
	s_wait_kmcnt 0x0
	s_abs_i32 s4, s16
	s_delay_alu instid0(SALU_CYCLE_1)
	s_mul_u64 s[6:7], s[4:5], s[2:3]
	s_ashr_i32 s5, s16, 31
	s_mul_i32 s6, s7, s8
	s_xor_b32 s5, s5, s10
	s_sub_co_i32 s4, s4, s6
	s_add_co_i32 s6, s7, 1
	s_sub_co_i32 s10, s4, s8
	s_cmp_ge_u32 s4, s8
	s_cselect_b32 s6, s6, s7
	s_wait_alu 0xfffe
	s_cselect_b32 s4, s10, s4
	s_add_co_i32 s7, s6, 1
	s_cmp_ge_u32 s4, s8
	s_cselect_b32 s4, s7, s6
	s_delay_alu instid0(SALU_CYCLE_1) | instskip(NEXT) | instid1(SALU_CYCLE_1)
	s_xor_b32 s4, s4, s5
	s_sub_co_i32 s28, s4, s5
	s_delay_alu instid0(SALU_CYCLE_1)
	s_ashr_i32 s29, s28, 31
.LBB40_3:
	s_load_b128 s[16:19], s[0:1], 0x8
	s_add_co_i32 s4, s12, s13
	s_mov_b32 s33, 0
	s_min_i32 s20, s4, s11
	s_cmp_gt_i32 s11, s4
	s_cbranch_scc1 .LBB40_5
; %bb.4:
	s_abs_i32 s4, s9
	s_mov_b32 s5, 0
	s_delay_alu instid0(SALU_CYCLE_1)
	s_mul_u64 s[2:3], s[4:5], s[2:3]
	s_wait_alu 0xfffe
	s_mul_i32 s2, s3, s8
	s_ashr_i32 s3, s9, 31
	s_wait_alu 0xfffe
	s_sub_co_i32 s2, s4, s2
	s_wait_alu 0xfffe
	s_sub_co_i32 s4, s2, s8
	s_cmp_ge_u32 s2, s8
	s_cselect_b32 s2, s4, s2
	s_wait_alu 0xfffe
	s_sub_co_i32 s4, s2, s8
	s_cmp_ge_u32 s2, s8
	s_cselect_b32 s2, s4, s2
	s_wait_alu 0xfffe
	s_xor_b32 s2, s2, s3
	s_wait_alu 0xfffe
	s_sub_co_i32 s33, s2, s3
	s_delay_alu instid0(SALU_CYCLE_1)
	s_cmp_lg_u32 s33, 0
	s_cselect_b32 s2, -1, 0
	s_wait_alu 0xfffe
	s_cmp_lg_u32 s2, 0
	s_sub_co_ci_u32 s20, s20, 0
.LBB40_5:
	s_clause 0x1
	s_load_b256 s[4:11], s[0:1], 0x28
	s_load_b64 s[22:23], s[0:1], 0x0
	s_ashr_i32 s27, s26, 31
	s_add_nc_u64 s[2:3], s[0:1], 0x58
	s_lshl_b64 s[0:1], s[28:29], 2
	s_wait_kmcnt 0x0
	s_mul_i32 s4, s24, s4
	s_mul_u64 s[24:25], s[10:11], s[26:27]
	s_ashr_i32 s5, s4, 31
	s_lshl_b64 s[24:25], s[24:25], 2
	s_lshl_b64 s[4:5], s[4:5], 2
	s_cmp_ge_i32 s12, s20
	s_add_nc_u64 s[4:5], s[18:19], s[4:5]
	s_delay_alu instid0(SALU_CYCLE_1)
	s_add_nc_u64 s[18:19], s[4:5], s[0:1]
	s_add_nc_u64 s[4:5], s[16:17], s[24:25]
	s_cbranch_scc1 .LBB40_14
; %bb.6:
	v_cmp_gt_i32_e64 s0, s15, v0
	s_cmp_gt_i32 s14, 0
	s_mov_b32 s17, 0
	s_cselect_b32 s21, -1, 0
	s_branch .LBB40_8
.LBB40_7:                               ;   in Loop: Header=BB40_8 Depth=1
	s_add_co_i32 s12, s12, 1
	s_delay_alu instid0(SALU_CYCLE_1)
	s_cmp_ge_i32 s12, s20
	s_cbranch_scc1 .LBB40_14
.LBB40_8:                               ; =>This Loop Header: Depth=1
                                        ;     Child Loop BB40_11 Depth 2
                                        ;       Child Loop BB40_13 Depth 3
	s_and_not1_b32 vcc_lo, exec_lo, s21
	s_wait_alu 0xfffe
	s_cbranch_vccnz .LBB40_7
; %bb.9:                                ;   in Loop: Header=BB40_8 Depth=1
	s_ashr_i32 s13, s12, 31
	s_mul_i32 s26, s12, s14
	s_lshl_b64 s[24:25], s[12:13], 2
	s_ashr_i32 s27, s26, 31
	s_add_nc_u64 s[24:25], s[18:19], s[24:25]
	s_mul_u64 s[26:27], s[10:11], s[26:27]
	s_load_b32 s24, s[24:25], 0x0
	s_lshl_b64 s[26:27], s[26:27], 2
	s_mov_b32 s16, 0
	s_wait_kmcnt 0x0
	s_ashr_i32 s25, s24, 31
	s_delay_alu instid0(SALU_CYCLE_1) | instskip(NEXT) | instid1(SALU_CYCLE_1)
	s_mul_u64 s[24:25], s[6:7], s[24:25]
	s_lshl_b64 s[28:29], s[24:25], 2
	s_add_nc_u64 s[24:25], s[4:5], s[26:27]
	s_wait_alu 0xfffe
	s_add_nc_u64 s[26:27], s[22:23], s[28:29]
	s_branch .LBB40_11
.LBB40_10:                              ;   in Loop: Header=BB40_11 Depth=2
	s_or_b32 exec_lo, exec_lo, s13
	s_add_co_i32 s16, s16, 1
	s_delay_alu instid0(SALU_CYCLE_1)
	s_cmp_eq_u32 s16, s14
	s_cbranch_scc1 .LBB40_7
.LBB40_11:                              ;   Parent Loop BB40_8 Depth=1
                                        ; =>  This Loop Header: Depth=2
                                        ;       Child Loop BB40_13 Depth 3
	s_and_saveexec_b32 s13, s0
	s_cbranch_execz .LBB40_10
; %bb.12:                               ;   in Loop: Header=BB40_11 Depth=2
	s_load_b32 s1, s[2:3], 0xc
	s_mul_u64 s[28:29], s[8:9], s[16:17]
	s_mul_u64 s[30:31], s[10:11], s[16:17]
	v_mov_b32_e32 v1, v0
	s_wait_alu 0xfffe
	s_lshl_b64 s[28:29], s[28:29], 2
	s_lshl_b64 s[30:31], s[30:31], 2
	s_wait_alu 0xfffe
	s_add_nc_u64 s[28:29], s[26:27], s[28:29]
	s_add_nc_u64 s[30:31], s[24:25], s[30:31]
	s_mov_b32 s35, 0
	s_wait_kmcnt 0x0
	s_and_b32 s34, s1, 0xffff
.LBB40_13:                              ;   Parent Loop BB40_8 Depth=1
                                        ;     Parent Loop BB40_11 Depth=2
                                        ; =>    This Inner Loop Header: Depth=3
	v_ashrrev_i32_e32 v2, 31, v1
	s_delay_alu instid0(VALU_DEP_1) | instskip(SKIP_2) | instid1(VALU_DEP_2)
	v_lshlrev_b64_e32 v[2:3], 2, v[1:2]
	s_wait_alu 0xfffe
	v_add_nc_u32_e32 v1, s34, v1
	v_add_co_u32 v4, vcc_lo, s28, v2
	s_wait_alu 0xfffd
	s_delay_alu instid0(VALU_DEP_3) | instskip(NEXT) | instid1(VALU_DEP_3)
	v_add_co_ci_u32_e64 v5, null, s29, v3, vcc_lo
	v_cmp_le_i32_e32 vcc_lo, s15, v1
	v_add_co_u32 v2, s1, s30, v2
	global_load_b32 v4, v[4:5], off
	s_wait_alu 0xf1ff
	v_add_co_ci_u32_e64 v3, null, s31, v3, s1
	s_or_b32 s35, vcc_lo, s35
	s_wait_loadcnt 0x0
	global_store_b32 v[2:3], v4, off
	s_wait_alu 0xfffe
	s_and_not1_b32 exec_lo, exec_lo, s35
	s_cbranch_execnz .LBB40_13
	s_branch .LBB40_10
.LBB40_14:
	s_cmp_lg_u32 s33, 0
	s_cbranch_scc0 .LBB40_21
; %bb.15:
	s_cmp_lt_i32 s33, 1
	s_cbranch_scc1 .LBB40_21
; %bb.16:
	s_ashr_i32 s21, s20, 31
	s_mul_i32 s16, s20, s14
	s_lshl_b64 s[0:1], s[20:21], 2
	s_ashr_i32 s17, s16, 31
	s_wait_alu 0xfffe
	s_add_nc_u64 s[0:1], s[18:19], s[0:1]
	s_mul_u64 s[16:17], s[10:11], s[16:17]
	s_load_b32 s0, s[0:1], 0x0
	s_mov_b32 s13, 0
	v_cmp_gt_i32_e32 vcc_lo, s15, v0
	s_mov_b32 s12, s13
	s_wait_kmcnt 0x0
	s_ashr_i32 s1, s0, 31
	s_wait_alu 0xfffe
	s_mul_u64 s[0:1], s[6:7], s[0:1]
	s_lshl_b64 s[6:7], s[16:17], 2
	s_wait_alu 0xfffe
	s_lshl_b64 s[0:1], s[0:1], 2
	s_add_nc_u64 s[4:5], s[4:5], s[6:7]
	s_wait_alu 0xfffe
	s_add_nc_u64 s[6:7], s[22:23], s[0:1]
	s_branch .LBB40_18
.LBB40_17:                              ;   in Loop: Header=BB40_18 Depth=1
	s_wait_alu 0xfffe
	s_or_b32 exec_lo, exec_lo, s14
	s_add_co_i32 s12, s12, 1
	s_delay_alu instid0(SALU_CYCLE_1)
	s_cmp_lg_u32 s12, s33
	s_cbranch_scc0 .LBB40_21
.LBB40_18:                              ; =>This Loop Header: Depth=1
                                        ;     Child Loop BB40_20 Depth 2
	s_and_saveexec_b32 s14, vcc_lo
	s_cbranch_execz .LBB40_17
; %bb.19:                               ;   in Loop: Header=BB40_18 Depth=1
	s_load_b32 s20, s[2:3], 0xc
	s_mul_u64 s[0:1], s[8:9], s[12:13]
	s_mul_u64 s[16:17], s[10:11], s[12:13]
	v_mov_b32_e32 v1, v0
	s_wait_alu 0xfffe
	s_lshl_b64 s[0:1], s[0:1], 2
	s_lshl_b64 s[18:19], s[16:17], 2
	s_wait_alu 0xfffe
	s_add_nc_u64 s[16:17], s[6:7], s[0:1]
	s_add_nc_u64 s[18:19], s[4:5], s[18:19]
	s_mov_b32 s21, 0
	s_wait_kmcnt 0x0
	s_and_b32 s20, s20, 0xffff
.LBB40_20:                              ;   Parent Loop BB40_18 Depth=1
                                        ; =>  This Inner Loop Header: Depth=2
	v_ashrrev_i32_e32 v2, 31, v1
	s_delay_alu instid0(VALU_DEP_1) | instskip(SKIP_2) | instid1(VALU_DEP_2)
	v_lshlrev_b64_e32 v[2:3], 2, v[1:2]
	s_wait_alu 0xfffe
	v_add_nc_u32_e32 v1, s20, v1
	v_add_co_u32 v4, s0, s16, v2
	s_wait_alu 0xf1ff
	s_delay_alu instid0(VALU_DEP_3) | instskip(NEXT) | instid1(VALU_DEP_3)
	v_add_co_ci_u32_e64 v5, null, s17, v3, s0
	v_cmp_le_i32_e64 s0, s15, v1
	v_add_co_u32 v2, s1, s18, v2
	global_load_b32 v4, v[4:5], off
	s_wait_alu 0xf1ff
	v_add_co_ci_u32_e64 v3, null, s19, v3, s1
	s_or_b32 s21, s0, s21
	s_wait_loadcnt 0x0
	global_store_b32 v[2:3], v4, off
	s_wait_alu 0xfffe
	s_and_not1_b32 exec_lo, exec_lo, s21
	s_cbranch_execnz .LBB40_20
	s_branch .LBB40_17
.LBB40_21:
	s_endpgm
	.section	.rodata,"a",@progbits
	.p2align	6, 0x0
	.amdhsa_kernel _ZN4vllm30gather_and_maybe_dequant_cacheIffLNS_18Fp8KVCacheDataTypeE0EEEvPKT0_PT_PKiS8_iillllPKfS8_
		.amdhsa_group_segment_fixed_size 0
		.amdhsa_private_segment_fixed_size 0
		.amdhsa_kernarg_size 344
		.amdhsa_user_sgpr_count 2
		.amdhsa_user_sgpr_dispatch_ptr 0
		.amdhsa_user_sgpr_queue_ptr 0
		.amdhsa_user_sgpr_kernarg_segment_ptr 1
		.amdhsa_user_sgpr_dispatch_id 0
		.amdhsa_user_sgpr_private_segment_size 0
		.amdhsa_wavefront_size32 1
		.amdhsa_uses_dynamic_stack 0
		.amdhsa_enable_private_segment 0
		.amdhsa_system_sgpr_workgroup_id_x 1
		.amdhsa_system_sgpr_workgroup_id_y 1
		.amdhsa_system_sgpr_workgroup_id_z 0
		.amdhsa_system_sgpr_workgroup_info 0
		.amdhsa_system_vgpr_workitem_id 0
		.amdhsa_next_free_vgpr 6
		.amdhsa_next_free_sgpr 36
		.amdhsa_reserve_vcc 1
		.amdhsa_float_round_mode_32 0
		.amdhsa_float_round_mode_16_64 0
		.amdhsa_float_denorm_mode_32 3
		.amdhsa_float_denorm_mode_16_64 3
		.amdhsa_fp16_overflow 0
		.amdhsa_workgroup_processor_mode 1
		.amdhsa_memory_ordered 1
		.amdhsa_forward_progress 1
		.amdhsa_inst_pref_size 11
		.amdhsa_round_robin_scheduling 0
		.amdhsa_exception_fp_ieee_invalid_op 0
		.amdhsa_exception_fp_denorm_src 0
		.amdhsa_exception_fp_ieee_div_zero 0
		.amdhsa_exception_fp_ieee_overflow 0
		.amdhsa_exception_fp_ieee_underflow 0
		.amdhsa_exception_fp_ieee_inexact 0
		.amdhsa_exception_int_div_zero 0
	.end_amdhsa_kernel
	.section	.text._ZN4vllm30gather_and_maybe_dequant_cacheIffLNS_18Fp8KVCacheDataTypeE0EEEvPKT0_PT_PKiS8_iillllPKfS8_,"axG",@progbits,_ZN4vllm30gather_and_maybe_dequant_cacheIffLNS_18Fp8KVCacheDataTypeE0EEEvPKT0_PT_PKiS8_iillllPKfS8_,comdat
.Lfunc_end40:
	.size	_ZN4vllm30gather_and_maybe_dequant_cacheIffLNS_18Fp8KVCacheDataTypeE0EEEvPKT0_PT_PKiS8_iillllPKfS8_, .Lfunc_end40-_ZN4vllm30gather_and_maybe_dequant_cacheIffLNS_18Fp8KVCacheDataTypeE0EEEvPKT0_PT_PKiS8_iillllPKfS8_
                                        ; -- End function
	.set _ZN4vllm30gather_and_maybe_dequant_cacheIffLNS_18Fp8KVCacheDataTypeE0EEEvPKT0_PT_PKiS8_iillllPKfS8_.num_vgpr, 6
	.set _ZN4vllm30gather_and_maybe_dequant_cacheIffLNS_18Fp8KVCacheDataTypeE0EEEvPKT0_PT_PKiS8_iillllPKfS8_.num_agpr, 0
	.set _ZN4vllm30gather_and_maybe_dequant_cacheIffLNS_18Fp8KVCacheDataTypeE0EEEvPKT0_PT_PKiS8_iillllPKfS8_.numbered_sgpr, 36
	.set _ZN4vllm30gather_and_maybe_dequant_cacheIffLNS_18Fp8KVCacheDataTypeE0EEEvPKT0_PT_PKiS8_iillllPKfS8_.num_named_barrier, 0
	.set _ZN4vllm30gather_and_maybe_dequant_cacheIffLNS_18Fp8KVCacheDataTypeE0EEEvPKT0_PT_PKiS8_iillllPKfS8_.private_seg_size, 0
	.set _ZN4vllm30gather_and_maybe_dequant_cacheIffLNS_18Fp8KVCacheDataTypeE0EEEvPKT0_PT_PKiS8_iillllPKfS8_.uses_vcc, 1
	.set _ZN4vllm30gather_and_maybe_dequant_cacheIffLNS_18Fp8KVCacheDataTypeE0EEEvPKT0_PT_PKiS8_iillllPKfS8_.uses_flat_scratch, 0
	.set _ZN4vllm30gather_and_maybe_dequant_cacheIffLNS_18Fp8KVCacheDataTypeE0EEEvPKT0_PT_PKiS8_iillllPKfS8_.has_dyn_sized_stack, 0
	.set _ZN4vllm30gather_and_maybe_dequant_cacheIffLNS_18Fp8KVCacheDataTypeE0EEEvPKT0_PT_PKiS8_iillllPKfS8_.has_recursion, 0
	.set _ZN4vllm30gather_and_maybe_dequant_cacheIffLNS_18Fp8KVCacheDataTypeE0EEEvPKT0_PT_PKiS8_iillllPKfS8_.has_indirect_call, 0
	.section	.AMDGPU.csdata,"",@progbits
; Kernel info:
; codeLenInByte = 1368
; TotalNumSgprs: 38
; NumVgprs: 6
; ScratchSize: 0
; MemoryBound: 0
; FloatMode: 240
; IeeeMode: 1
; LDSByteSize: 0 bytes/workgroup (compile time only)
; SGPRBlocks: 0
; VGPRBlocks: 0
; NumSGPRsForWavesPerEU: 38
; NumVGPRsForWavesPerEU: 6
; Occupancy: 16
; WaveLimiterHint : 1
; COMPUTE_PGM_RSRC2:SCRATCH_EN: 0
; COMPUTE_PGM_RSRC2:USER_SGPR: 2
; COMPUTE_PGM_RSRC2:TRAP_HANDLER: 0
; COMPUTE_PGM_RSRC2:TGID_X_EN: 1
; COMPUTE_PGM_RSRC2:TGID_Y_EN: 1
; COMPUTE_PGM_RSRC2:TGID_Z_EN: 0
; COMPUTE_PGM_RSRC2:TIDIG_COMP_CNT: 0
	.section	.text._ZN4vllm30gather_and_maybe_dequant_cacheIttLNS_18Fp8KVCacheDataTypeE0EEEvPKT0_PT_PKiS8_iillllPKfS8_,"axG",@progbits,_ZN4vllm30gather_and_maybe_dequant_cacheIttLNS_18Fp8KVCacheDataTypeE0EEEvPKT0_PT_PKiS8_iillllPKfS8_,comdat
	.protected	_ZN4vllm30gather_and_maybe_dequant_cacheIttLNS_18Fp8KVCacheDataTypeE0EEEvPKT0_PT_PKiS8_iillllPKfS8_ ; -- Begin function _ZN4vllm30gather_and_maybe_dequant_cacheIttLNS_18Fp8KVCacheDataTypeE0EEEvPKT0_PT_PKiS8_iillllPKfS8_
	.globl	_ZN4vllm30gather_and_maybe_dequant_cacheIttLNS_18Fp8KVCacheDataTypeE0EEEvPKT0_PT_PKiS8_iillllPKfS8_
	.p2align	8
	.type	_ZN4vllm30gather_and_maybe_dequant_cacheIttLNS_18Fp8KVCacheDataTypeE0EEEvPKT0_PT_PKiS8_iillllPKfS8_,@function
_ZN4vllm30gather_and_maybe_dequant_cacheIttLNS_18Fp8KVCacheDataTypeE0EEEvPKT0_PT_PKiS8_iillllPKfS8_: ; @_ZN4vllm30gather_and_maybe_dequant_cacheIttLNS_18Fp8KVCacheDataTypeE0EEEvPKT0_PT_PKiS8_iillllPKfS8_
; %bb.0:
	s_clause 0x1
	s_load_b128 s[12:15], s[0:1], 0x18
	s_load_b32 s16, s[0:1], 0x5c
	s_mov_b32 s3, 0
	s_mov_b32 s24, ttmp9
	s_mov_b32 s25, s3
	s_delay_alu instid0(SALU_CYCLE_1)
	s_lshl_b64 s[4:5], s[24:25], 2
	s_wait_kmcnt 0x0
	s_abs_i32 s8, s14
	s_add_nc_u64 s[6:7], s[12:13], s[4:5]
	s_cvt_f32_u32 s2, s8
	s_load_b64 s[26:27], s[6:7], 0x0
	s_sub_co_i32 s6, 0, s8
	s_ashr_i32 s10, s14, 31
	v_rcp_iflag_f32_e32 v1, s2
	s_delay_alu instid0(TRANS32_DEP_1) | instskip(SKIP_3) | instid1(SALU_CYCLE_1)
	v_readfirstlane_b32 s2, v1
	s_mul_f32 s2, s2, 0x4f7ffffe
	s_wait_kmcnt 0x0
	s_sub_co_i32 s9, s27, s26
	s_add_co_i32 s7, s14, s9
	s_wait_alu 0xfffe
	s_cvt_u32_f32 s2, s2
	s_add_co_i32 s7, s7, -1
	s_delay_alu instid0(SALU_CYCLE_1)
	s_abs_i32 s11, s7
	s_wait_alu 0xfffe
	s_mul_i32 s6, s6, s2
	s_ashr_i32 s7, s7, 31
	s_mul_hi_u32 s6, s2, s6
	s_xor_b32 s7, s7, s10
	s_add_co_i32 s2, s2, s6
	s_wait_alu 0xfffe
	s_mul_hi_u32 s6, s11, s2
	s_delay_alu instid0(SALU_CYCLE_1) | instskip(NEXT) | instid1(SALU_CYCLE_1)
	s_mul_i32 s12, s6, s8
	s_sub_co_i32 s11, s11, s12
	s_add_co_i32 s12, s6, 1
	s_sub_co_i32 s13, s11, s8
	s_cmp_ge_u32 s11, s8
	s_cselect_b32 s6, s12, s6
	s_cselect_b32 s11, s13, s11
	s_add_co_i32 s12, s6, 1
	s_cmp_ge_u32 s11, s8
	s_cselect_b32 s6, s12, s6
	s_abs_i32 s12, s16
	s_xor_b32 s6, s6, s7
	s_cvt_f32_u32 s11, s12
	s_delay_alu instid0(SALU_CYCLE_3) | instskip(NEXT) | instid1(TRANS32_DEP_1)
	v_rcp_iflag_f32_e32 v1, s11
	v_readfirstlane_b32 s11, v1
	s_mul_f32 s11, s11, 0x4f7ffffe
	s_wait_alu 0xfffe
	s_delay_alu instid0(SALU_CYCLE_2)
	s_cvt_u32_f32 s13, s11
	s_sub_co_i32 s11, s6, s7
	s_sub_co_i32 s6, 0, s12
	s_wait_alu 0xfffe
	s_add_co_i32 s7, s16, s11
	s_mul_i32 s6, s6, s13
	s_add_co_i32 s7, s7, -1
	s_mul_hi_u32 s6, s13, s6
	s_abs_i32 s17, s7
	s_add_co_i32 s13, s13, s6
	s_xor_b32 s7, s7, s16
	s_mul_hi_u32 s6, s17, s13
	s_ashr_i32 s7, s7, 31
	s_mul_i32 s13, s6, s12
	s_add_co_i32 s16, s6, 1
	s_sub_co_i32 s13, s17, s13
	s_delay_alu instid0(SALU_CYCLE_1)
	s_sub_co_i32 s17, s13, s12
	s_cmp_ge_u32 s13, s12
	s_cselect_b32 s6, s16, s6
	s_cselect_b32 s13, s17, s13
	s_add_co_i32 s16, s6, 1
	s_cmp_ge_u32 s13, s12
	s_cselect_b32 s6, s16, s6
	s_delay_alu instid0(SALU_CYCLE_1) | instskip(NEXT) | instid1(SALU_CYCLE_1)
	s_xor_b32 s6, s6, s7
	s_sub_co_i32 s13, s6, s7
	s_delay_alu instid0(SALU_CYCLE_1) | instskip(NEXT) | instid1(SALU_CYCLE_1)
	s_mul_i32 s12, s13, ttmp7
	s_cmp_ge_i32 s12, s11
	s_cbranch_scc1 .LBB41_21
; %bb.1:
	s_load_b64 s[6:7], s[0:1], 0x50
	s_mov_b64 s[28:29], 0
	s_wait_kmcnt 0x0
	s_cmp_eq_u64 s[6:7], 0
	s_cbranch_scc1 .LBB41_3
; %bb.2:
	s_add_nc_u64 s[4:5], s[6:7], s[4:5]
	s_load_b32 s16, s[4:5], 0x0
	s_mov_b32 s5, 0
	s_wait_kmcnt 0x0
	s_abs_i32 s4, s16
	s_delay_alu instid0(SALU_CYCLE_1)
	s_mul_u64 s[6:7], s[4:5], s[2:3]
	s_ashr_i32 s5, s16, 31
	s_mul_i32 s6, s7, s8
	s_xor_b32 s5, s5, s10
	s_sub_co_i32 s4, s4, s6
	s_add_co_i32 s6, s7, 1
	s_sub_co_i32 s10, s4, s8
	s_cmp_ge_u32 s4, s8
	s_cselect_b32 s6, s6, s7
	s_wait_alu 0xfffe
	s_cselect_b32 s4, s10, s4
	s_add_co_i32 s7, s6, 1
	s_cmp_ge_u32 s4, s8
	s_cselect_b32 s4, s7, s6
	s_delay_alu instid0(SALU_CYCLE_1) | instskip(NEXT) | instid1(SALU_CYCLE_1)
	s_xor_b32 s4, s4, s5
	s_sub_co_i32 s28, s4, s5
	s_delay_alu instid0(SALU_CYCLE_1)
	s_ashr_i32 s29, s28, 31
.LBB41_3:
	s_load_b128 s[16:19], s[0:1], 0x8
	s_add_co_i32 s4, s12, s13
	s_mov_b32 s33, 0
	s_min_i32 s20, s4, s11
	s_cmp_gt_i32 s11, s4
	s_cbranch_scc1 .LBB41_5
; %bb.4:
	s_abs_i32 s4, s9
	s_mov_b32 s5, 0
	s_delay_alu instid0(SALU_CYCLE_1)
	s_mul_u64 s[2:3], s[4:5], s[2:3]
	s_wait_alu 0xfffe
	s_mul_i32 s2, s3, s8
	s_ashr_i32 s3, s9, 31
	s_wait_alu 0xfffe
	s_sub_co_i32 s2, s4, s2
	s_wait_alu 0xfffe
	s_sub_co_i32 s4, s2, s8
	s_cmp_ge_u32 s2, s8
	s_cselect_b32 s2, s4, s2
	s_wait_alu 0xfffe
	s_sub_co_i32 s4, s2, s8
	s_cmp_ge_u32 s2, s8
	s_cselect_b32 s2, s4, s2
	s_wait_alu 0xfffe
	s_xor_b32 s2, s2, s3
	s_wait_alu 0xfffe
	s_sub_co_i32 s33, s2, s3
	s_delay_alu instid0(SALU_CYCLE_1)
	s_cmp_lg_u32 s33, 0
	s_cselect_b32 s2, -1, 0
	s_wait_alu 0xfffe
	s_cmp_lg_u32 s2, 0
	s_sub_co_ci_u32 s20, s20, 0
.LBB41_5:
	s_clause 0x1
	s_load_b256 s[4:11], s[0:1], 0x28
	s_load_b64 s[22:23], s[0:1], 0x0
	s_ashr_i32 s27, s26, 31
	s_add_nc_u64 s[2:3], s[0:1], 0x58
	s_lshl_b64 s[0:1], s[28:29], 2
	s_wait_kmcnt 0x0
	s_mul_i32 s4, s24, s4
	s_mul_u64 s[24:25], s[10:11], s[26:27]
	s_ashr_i32 s5, s4, 31
	s_lshl_b64 s[24:25], s[24:25], 1
	s_lshl_b64 s[4:5], s[4:5], 2
	s_cmp_ge_i32 s12, s20
	s_add_nc_u64 s[4:5], s[18:19], s[4:5]
	s_delay_alu instid0(SALU_CYCLE_1)
	s_add_nc_u64 s[18:19], s[4:5], s[0:1]
	s_add_nc_u64 s[4:5], s[16:17], s[24:25]
	s_cbranch_scc1 .LBB41_14
; %bb.6:
	v_cmp_gt_i32_e64 s0, s15, v0
	s_cmp_gt_i32 s14, 0
	s_mov_b32 s17, 0
	s_cselect_b32 s21, -1, 0
	s_branch .LBB41_8
.LBB41_7:                               ;   in Loop: Header=BB41_8 Depth=1
	s_add_co_i32 s12, s12, 1
	s_delay_alu instid0(SALU_CYCLE_1)
	s_cmp_ge_i32 s12, s20
	s_cbranch_scc1 .LBB41_14
.LBB41_8:                               ; =>This Loop Header: Depth=1
                                        ;     Child Loop BB41_11 Depth 2
                                        ;       Child Loop BB41_13 Depth 3
	s_and_not1_b32 vcc_lo, exec_lo, s21
	s_wait_alu 0xfffe
	s_cbranch_vccnz .LBB41_7
; %bb.9:                                ;   in Loop: Header=BB41_8 Depth=1
	s_ashr_i32 s13, s12, 31
	s_mul_i32 s26, s12, s14
	s_lshl_b64 s[24:25], s[12:13], 2
	s_ashr_i32 s27, s26, 31
	s_add_nc_u64 s[24:25], s[18:19], s[24:25]
	s_mul_u64 s[26:27], s[10:11], s[26:27]
	s_load_b32 s24, s[24:25], 0x0
	s_lshl_b64 s[26:27], s[26:27], 1
	s_mov_b32 s16, 0
	s_wait_kmcnt 0x0
	s_ashr_i32 s25, s24, 31
	s_delay_alu instid0(SALU_CYCLE_1) | instskip(NEXT) | instid1(SALU_CYCLE_1)
	s_mul_u64 s[24:25], s[6:7], s[24:25]
	s_lshl_b64 s[28:29], s[24:25], 1
	s_add_nc_u64 s[24:25], s[4:5], s[26:27]
	s_wait_alu 0xfffe
	s_add_nc_u64 s[26:27], s[22:23], s[28:29]
	s_branch .LBB41_11
.LBB41_10:                              ;   in Loop: Header=BB41_11 Depth=2
	s_or_b32 exec_lo, exec_lo, s13
	s_add_co_i32 s16, s16, 1
	s_delay_alu instid0(SALU_CYCLE_1)
	s_cmp_eq_u32 s16, s14
	s_cbranch_scc1 .LBB41_7
.LBB41_11:                              ;   Parent Loop BB41_8 Depth=1
                                        ; =>  This Loop Header: Depth=2
                                        ;       Child Loop BB41_13 Depth 3
	s_and_saveexec_b32 s13, s0
	s_cbranch_execz .LBB41_10
; %bb.12:                               ;   in Loop: Header=BB41_11 Depth=2
	s_load_b32 s1, s[2:3], 0xc
	s_mul_u64 s[28:29], s[8:9], s[16:17]
	s_mul_u64 s[30:31], s[10:11], s[16:17]
	v_mov_b32_e32 v1, v0
	s_wait_alu 0xfffe
	s_lshl_b64 s[28:29], s[28:29], 1
	s_lshl_b64 s[30:31], s[30:31], 1
	s_wait_alu 0xfffe
	s_add_nc_u64 s[28:29], s[26:27], s[28:29]
	s_add_nc_u64 s[30:31], s[24:25], s[30:31]
	s_mov_b32 s35, 0
	s_wait_kmcnt 0x0
	s_and_b32 s34, s1, 0xffff
.LBB41_13:                              ;   Parent Loop BB41_8 Depth=1
                                        ;     Parent Loop BB41_11 Depth=2
                                        ; =>    This Inner Loop Header: Depth=3
	v_ashrrev_i32_e32 v2, 31, v1
	s_delay_alu instid0(VALU_DEP_1) | instskip(SKIP_2) | instid1(VALU_DEP_2)
	v_lshlrev_b64_e32 v[2:3], 1, v[1:2]
	s_wait_alu 0xfffe
	v_add_nc_u32_e32 v1, s34, v1
	v_add_co_u32 v4, vcc_lo, s28, v2
	s_wait_alu 0xfffd
	s_delay_alu instid0(VALU_DEP_3) | instskip(NEXT) | instid1(VALU_DEP_3)
	v_add_co_ci_u32_e64 v5, null, s29, v3, vcc_lo
	v_cmp_le_i32_e32 vcc_lo, s15, v1
	v_add_co_u32 v2, s1, s30, v2
	global_load_u16 v4, v[4:5], off
	s_wait_alu 0xf1ff
	v_add_co_ci_u32_e64 v3, null, s31, v3, s1
	s_or_b32 s35, vcc_lo, s35
	s_wait_loadcnt 0x0
	global_store_b16 v[2:3], v4, off
	s_wait_alu 0xfffe
	s_and_not1_b32 exec_lo, exec_lo, s35
	s_cbranch_execnz .LBB41_13
	s_branch .LBB41_10
.LBB41_14:
	s_cmp_lg_u32 s33, 0
	s_cbranch_scc0 .LBB41_21
; %bb.15:
	s_cmp_lt_i32 s33, 1
	s_cbranch_scc1 .LBB41_21
; %bb.16:
	s_ashr_i32 s21, s20, 31
	s_mul_i32 s16, s20, s14
	s_lshl_b64 s[0:1], s[20:21], 2
	s_ashr_i32 s17, s16, 31
	s_wait_alu 0xfffe
	s_add_nc_u64 s[0:1], s[18:19], s[0:1]
	s_mul_u64 s[16:17], s[10:11], s[16:17]
	s_load_b32 s0, s[0:1], 0x0
	s_mov_b32 s13, 0
	v_cmp_gt_i32_e32 vcc_lo, s15, v0
	s_mov_b32 s12, s13
	s_wait_kmcnt 0x0
	s_ashr_i32 s1, s0, 31
	s_wait_alu 0xfffe
	s_mul_u64 s[0:1], s[6:7], s[0:1]
	s_lshl_b64 s[6:7], s[16:17], 1
	s_wait_alu 0xfffe
	s_lshl_b64 s[0:1], s[0:1], 1
	s_add_nc_u64 s[4:5], s[4:5], s[6:7]
	s_wait_alu 0xfffe
	s_add_nc_u64 s[6:7], s[22:23], s[0:1]
	s_branch .LBB41_18
.LBB41_17:                              ;   in Loop: Header=BB41_18 Depth=1
	s_wait_alu 0xfffe
	s_or_b32 exec_lo, exec_lo, s14
	s_add_co_i32 s12, s12, 1
	s_delay_alu instid0(SALU_CYCLE_1)
	s_cmp_lg_u32 s12, s33
	s_cbranch_scc0 .LBB41_21
.LBB41_18:                              ; =>This Loop Header: Depth=1
                                        ;     Child Loop BB41_20 Depth 2
	s_and_saveexec_b32 s14, vcc_lo
	s_cbranch_execz .LBB41_17
; %bb.19:                               ;   in Loop: Header=BB41_18 Depth=1
	s_load_b32 s20, s[2:3], 0xc
	s_mul_u64 s[0:1], s[8:9], s[12:13]
	s_mul_u64 s[16:17], s[10:11], s[12:13]
	v_mov_b32_e32 v1, v0
	s_wait_alu 0xfffe
	s_lshl_b64 s[0:1], s[0:1], 1
	s_lshl_b64 s[18:19], s[16:17], 1
	s_wait_alu 0xfffe
	s_add_nc_u64 s[16:17], s[6:7], s[0:1]
	s_add_nc_u64 s[18:19], s[4:5], s[18:19]
	s_mov_b32 s21, 0
	s_wait_kmcnt 0x0
	s_and_b32 s20, s20, 0xffff
.LBB41_20:                              ;   Parent Loop BB41_18 Depth=1
                                        ; =>  This Inner Loop Header: Depth=2
	v_ashrrev_i32_e32 v2, 31, v1
	s_delay_alu instid0(VALU_DEP_1) | instskip(SKIP_2) | instid1(VALU_DEP_2)
	v_lshlrev_b64_e32 v[2:3], 1, v[1:2]
	s_wait_alu 0xfffe
	v_add_nc_u32_e32 v1, s20, v1
	v_add_co_u32 v4, s0, s16, v2
	s_wait_alu 0xf1ff
	s_delay_alu instid0(VALU_DEP_3) | instskip(NEXT) | instid1(VALU_DEP_3)
	v_add_co_ci_u32_e64 v5, null, s17, v3, s0
	v_cmp_le_i32_e64 s0, s15, v1
	v_add_co_u32 v2, s1, s18, v2
	global_load_u16 v4, v[4:5], off
	s_wait_alu 0xf1ff
	v_add_co_ci_u32_e64 v3, null, s19, v3, s1
	s_or_b32 s21, s0, s21
	s_wait_loadcnt 0x0
	global_store_b16 v[2:3], v4, off
	s_wait_alu 0xfffe
	s_and_not1_b32 exec_lo, exec_lo, s21
	s_cbranch_execnz .LBB41_20
	s_branch .LBB41_17
.LBB41_21:
	s_endpgm
	.section	.rodata,"a",@progbits
	.p2align	6, 0x0
	.amdhsa_kernel _ZN4vllm30gather_and_maybe_dequant_cacheIttLNS_18Fp8KVCacheDataTypeE0EEEvPKT0_PT_PKiS8_iillllPKfS8_
		.amdhsa_group_segment_fixed_size 0
		.amdhsa_private_segment_fixed_size 0
		.amdhsa_kernarg_size 344
		.amdhsa_user_sgpr_count 2
		.amdhsa_user_sgpr_dispatch_ptr 0
		.amdhsa_user_sgpr_queue_ptr 0
		.amdhsa_user_sgpr_kernarg_segment_ptr 1
		.amdhsa_user_sgpr_dispatch_id 0
		.amdhsa_user_sgpr_private_segment_size 0
		.amdhsa_wavefront_size32 1
		.amdhsa_uses_dynamic_stack 0
		.amdhsa_enable_private_segment 0
		.amdhsa_system_sgpr_workgroup_id_x 1
		.amdhsa_system_sgpr_workgroup_id_y 1
		.amdhsa_system_sgpr_workgroup_id_z 0
		.amdhsa_system_sgpr_workgroup_info 0
		.amdhsa_system_vgpr_workitem_id 0
		.amdhsa_next_free_vgpr 6
		.amdhsa_next_free_sgpr 36
		.amdhsa_reserve_vcc 1
		.amdhsa_float_round_mode_32 0
		.amdhsa_float_round_mode_16_64 0
		.amdhsa_float_denorm_mode_32 3
		.amdhsa_float_denorm_mode_16_64 3
		.amdhsa_fp16_overflow 0
		.amdhsa_workgroup_processor_mode 1
		.amdhsa_memory_ordered 1
		.amdhsa_forward_progress 1
		.amdhsa_inst_pref_size 11
		.amdhsa_round_robin_scheduling 0
		.amdhsa_exception_fp_ieee_invalid_op 0
		.amdhsa_exception_fp_denorm_src 0
		.amdhsa_exception_fp_ieee_div_zero 0
		.amdhsa_exception_fp_ieee_overflow 0
		.amdhsa_exception_fp_ieee_underflow 0
		.amdhsa_exception_fp_ieee_inexact 0
		.amdhsa_exception_int_div_zero 0
	.end_amdhsa_kernel
	.section	.text._ZN4vllm30gather_and_maybe_dequant_cacheIttLNS_18Fp8KVCacheDataTypeE0EEEvPKT0_PT_PKiS8_iillllPKfS8_,"axG",@progbits,_ZN4vllm30gather_and_maybe_dequant_cacheIttLNS_18Fp8KVCacheDataTypeE0EEEvPKT0_PT_PKiS8_iillllPKfS8_,comdat
.Lfunc_end41:
	.size	_ZN4vllm30gather_and_maybe_dequant_cacheIttLNS_18Fp8KVCacheDataTypeE0EEEvPKT0_PT_PKiS8_iillllPKfS8_, .Lfunc_end41-_ZN4vllm30gather_and_maybe_dequant_cacheIttLNS_18Fp8KVCacheDataTypeE0EEEvPKT0_PT_PKiS8_iillllPKfS8_
                                        ; -- End function
	.set _ZN4vllm30gather_and_maybe_dequant_cacheIttLNS_18Fp8KVCacheDataTypeE0EEEvPKT0_PT_PKiS8_iillllPKfS8_.num_vgpr, 6
	.set _ZN4vllm30gather_and_maybe_dequant_cacheIttLNS_18Fp8KVCacheDataTypeE0EEEvPKT0_PT_PKiS8_iillllPKfS8_.num_agpr, 0
	.set _ZN4vllm30gather_and_maybe_dequant_cacheIttLNS_18Fp8KVCacheDataTypeE0EEEvPKT0_PT_PKiS8_iillllPKfS8_.numbered_sgpr, 36
	.set _ZN4vllm30gather_and_maybe_dequant_cacheIttLNS_18Fp8KVCacheDataTypeE0EEEvPKT0_PT_PKiS8_iillllPKfS8_.num_named_barrier, 0
	.set _ZN4vllm30gather_and_maybe_dequant_cacheIttLNS_18Fp8KVCacheDataTypeE0EEEvPKT0_PT_PKiS8_iillllPKfS8_.private_seg_size, 0
	.set _ZN4vllm30gather_and_maybe_dequant_cacheIttLNS_18Fp8KVCacheDataTypeE0EEEvPKT0_PT_PKiS8_iillllPKfS8_.uses_vcc, 1
	.set _ZN4vllm30gather_and_maybe_dequant_cacheIttLNS_18Fp8KVCacheDataTypeE0EEEvPKT0_PT_PKiS8_iillllPKfS8_.uses_flat_scratch, 0
	.set _ZN4vllm30gather_and_maybe_dequant_cacheIttLNS_18Fp8KVCacheDataTypeE0EEEvPKT0_PT_PKiS8_iillllPKfS8_.has_dyn_sized_stack, 0
	.set _ZN4vllm30gather_and_maybe_dequant_cacheIttLNS_18Fp8KVCacheDataTypeE0EEEvPKT0_PT_PKiS8_iillllPKfS8_.has_recursion, 0
	.set _ZN4vllm30gather_and_maybe_dequant_cacheIttLNS_18Fp8KVCacheDataTypeE0EEEvPKT0_PT_PKiS8_iillllPKfS8_.has_indirect_call, 0
	.section	.AMDGPU.csdata,"",@progbits
; Kernel info:
; codeLenInByte = 1368
; TotalNumSgprs: 38
; NumVgprs: 6
; ScratchSize: 0
; MemoryBound: 0
; FloatMode: 240
; IeeeMode: 1
; LDSByteSize: 0 bytes/workgroup (compile time only)
; SGPRBlocks: 0
; VGPRBlocks: 0
; NumSGPRsForWavesPerEU: 38
; NumVGPRsForWavesPerEU: 6
; Occupancy: 16
; WaveLimiterHint : 1
; COMPUTE_PGM_RSRC2:SCRATCH_EN: 0
; COMPUTE_PGM_RSRC2:USER_SGPR: 2
; COMPUTE_PGM_RSRC2:TRAP_HANDLER: 0
; COMPUTE_PGM_RSRC2:TGID_X_EN: 1
; COMPUTE_PGM_RSRC2:TGID_Y_EN: 1
; COMPUTE_PGM_RSRC2:TGID_Z_EN: 0
; COMPUTE_PGM_RSRC2:TIDIG_COMP_CNT: 0
	.section	.text._ZN4vllm30gather_and_maybe_dequant_cacheI14__hip_bfloat16S1_LNS_18Fp8KVCacheDataTypeE0EEEvPKT0_PT_PKiS9_iillllPKfS9_,"axG",@progbits,_ZN4vllm30gather_and_maybe_dequant_cacheI14__hip_bfloat16S1_LNS_18Fp8KVCacheDataTypeE0EEEvPKT0_PT_PKiS9_iillllPKfS9_,comdat
	.protected	_ZN4vllm30gather_and_maybe_dequant_cacheI14__hip_bfloat16S1_LNS_18Fp8KVCacheDataTypeE0EEEvPKT0_PT_PKiS9_iillllPKfS9_ ; -- Begin function _ZN4vllm30gather_and_maybe_dequant_cacheI14__hip_bfloat16S1_LNS_18Fp8KVCacheDataTypeE0EEEvPKT0_PT_PKiS9_iillllPKfS9_
	.globl	_ZN4vllm30gather_and_maybe_dequant_cacheI14__hip_bfloat16S1_LNS_18Fp8KVCacheDataTypeE0EEEvPKT0_PT_PKiS9_iillllPKfS9_
	.p2align	8
	.type	_ZN4vllm30gather_and_maybe_dequant_cacheI14__hip_bfloat16S1_LNS_18Fp8KVCacheDataTypeE0EEEvPKT0_PT_PKiS9_iillllPKfS9_,@function
_ZN4vllm30gather_and_maybe_dequant_cacheI14__hip_bfloat16S1_LNS_18Fp8KVCacheDataTypeE0EEEvPKT0_PT_PKiS9_iillllPKfS9_: ; @_ZN4vllm30gather_and_maybe_dequant_cacheI14__hip_bfloat16S1_LNS_18Fp8KVCacheDataTypeE0EEEvPKT0_PT_PKiS9_iillllPKfS9_
; %bb.0:
	s_clause 0x1
	s_load_b128 s[12:15], s[0:1], 0x18
	s_load_b32 s16, s[0:1], 0x5c
	s_mov_b32 s3, 0
	s_mov_b32 s24, ttmp9
	s_mov_b32 s25, s3
	s_delay_alu instid0(SALU_CYCLE_1)
	s_lshl_b64 s[4:5], s[24:25], 2
	s_wait_kmcnt 0x0
	s_abs_i32 s8, s14
	s_add_nc_u64 s[6:7], s[12:13], s[4:5]
	s_cvt_f32_u32 s2, s8
	s_load_b64 s[26:27], s[6:7], 0x0
	s_sub_co_i32 s6, 0, s8
	s_ashr_i32 s10, s14, 31
	v_rcp_iflag_f32_e32 v1, s2
	s_delay_alu instid0(TRANS32_DEP_1) | instskip(SKIP_3) | instid1(SALU_CYCLE_1)
	v_readfirstlane_b32 s2, v1
	s_mul_f32 s2, s2, 0x4f7ffffe
	s_wait_kmcnt 0x0
	s_sub_co_i32 s9, s27, s26
	s_add_co_i32 s7, s14, s9
	s_wait_alu 0xfffe
	s_cvt_u32_f32 s2, s2
	s_add_co_i32 s7, s7, -1
	s_delay_alu instid0(SALU_CYCLE_1)
	s_abs_i32 s11, s7
	s_wait_alu 0xfffe
	s_mul_i32 s6, s6, s2
	s_ashr_i32 s7, s7, 31
	s_mul_hi_u32 s6, s2, s6
	s_xor_b32 s7, s7, s10
	s_add_co_i32 s2, s2, s6
	s_wait_alu 0xfffe
	s_mul_hi_u32 s6, s11, s2
	s_delay_alu instid0(SALU_CYCLE_1) | instskip(NEXT) | instid1(SALU_CYCLE_1)
	s_mul_i32 s12, s6, s8
	s_sub_co_i32 s11, s11, s12
	s_add_co_i32 s12, s6, 1
	s_sub_co_i32 s13, s11, s8
	s_cmp_ge_u32 s11, s8
	s_cselect_b32 s6, s12, s6
	s_cselect_b32 s11, s13, s11
	s_add_co_i32 s12, s6, 1
	s_cmp_ge_u32 s11, s8
	s_cselect_b32 s6, s12, s6
	s_abs_i32 s12, s16
	s_xor_b32 s6, s6, s7
	s_cvt_f32_u32 s11, s12
	s_delay_alu instid0(SALU_CYCLE_3) | instskip(NEXT) | instid1(TRANS32_DEP_1)
	v_rcp_iflag_f32_e32 v1, s11
	v_readfirstlane_b32 s11, v1
	s_mul_f32 s11, s11, 0x4f7ffffe
	s_wait_alu 0xfffe
	s_delay_alu instid0(SALU_CYCLE_2)
	s_cvt_u32_f32 s13, s11
	s_sub_co_i32 s11, s6, s7
	s_sub_co_i32 s6, 0, s12
	s_wait_alu 0xfffe
	s_add_co_i32 s7, s16, s11
	s_mul_i32 s6, s6, s13
	s_add_co_i32 s7, s7, -1
	s_mul_hi_u32 s6, s13, s6
	s_abs_i32 s17, s7
	s_add_co_i32 s13, s13, s6
	s_xor_b32 s7, s7, s16
	s_mul_hi_u32 s6, s17, s13
	s_ashr_i32 s7, s7, 31
	s_mul_i32 s13, s6, s12
	s_add_co_i32 s16, s6, 1
	s_sub_co_i32 s13, s17, s13
	s_delay_alu instid0(SALU_CYCLE_1)
	s_sub_co_i32 s17, s13, s12
	s_cmp_ge_u32 s13, s12
	s_cselect_b32 s6, s16, s6
	s_cselect_b32 s13, s17, s13
	s_add_co_i32 s16, s6, 1
	s_cmp_ge_u32 s13, s12
	s_cselect_b32 s6, s16, s6
	s_delay_alu instid0(SALU_CYCLE_1) | instskip(NEXT) | instid1(SALU_CYCLE_1)
	s_xor_b32 s6, s6, s7
	s_sub_co_i32 s13, s6, s7
	s_delay_alu instid0(SALU_CYCLE_1) | instskip(NEXT) | instid1(SALU_CYCLE_1)
	s_mul_i32 s12, s13, ttmp7
	s_cmp_ge_i32 s12, s11
	s_cbranch_scc1 .LBB42_21
; %bb.1:
	s_load_b64 s[6:7], s[0:1], 0x50
	s_mov_b64 s[28:29], 0
	s_wait_kmcnt 0x0
	s_cmp_eq_u64 s[6:7], 0
	s_cbranch_scc1 .LBB42_3
; %bb.2:
	s_add_nc_u64 s[4:5], s[6:7], s[4:5]
	s_load_b32 s16, s[4:5], 0x0
	s_mov_b32 s5, 0
	s_wait_kmcnt 0x0
	s_abs_i32 s4, s16
	s_delay_alu instid0(SALU_CYCLE_1)
	s_mul_u64 s[6:7], s[4:5], s[2:3]
	s_ashr_i32 s5, s16, 31
	s_mul_i32 s6, s7, s8
	s_xor_b32 s5, s5, s10
	s_sub_co_i32 s4, s4, s6
	s_add_co_i32 s6, s7, 1
	s_sub_co_i32 s10, s4, s8
	s_cmp_ge_u32 s4, s8
	s_cselect_b32 s6, s6, s7
	s_wait_alu 0xfffe
	s_cselect_b32 s4, s10, s4
	s_add_co_i32 s7, s6, 1
	s_cmp_ge_u32 s4, s8
	s_cselect_b32 s4, s7, s6
	s_delay_alu instid0(SALU_CYCLE_1) | instskip(NEXT) | instid1(SALU_CYCLE_1)
	s_xor_b32 s4, s4, s5
	s_sub_co_i32 s28, s4, s5
	s_delay_alu instid0(SALU_CYCLE_1)
	s_ashr_i32 s29, s28, 31
.LBB42_3:
	s_load_b128 s[16:19], s[0:1], 0x8
	s_add_co_i32 s4, s12, s13
	s_mov_b32 s33, 0
	s_min_i32 s20, s4, s11
	s_cmp_gt_i32 s11, s4
	s_cbranch_scc1 .LBB42_5
; %bb.4:
	s_abs_i32 s4, s9
	s_mov_b32 s5, 0
	s_delay_alu instid0(SALU_CYCLE_1)
	s_mul_u64 s[2:3], s[4:5], s[2:3]
	s_wait_alu 0xfffe
	s_mul_i32 s2, s3, s8
	s_ashr_i32 s3, s9, 31
	s_wait_alu 0xfffe
	s_sub_co_i32 s2, s4, s2
	s_wait_alu 0xfffe
	s_sub_co_i32 s4, s2, s8
	s_cmp_ge_u32 s2, s8
	s_cselect_b32 s2, s4, s2
	s_wait_alu 0xfffe
	s_sub_co_i32 s4, s2, s8
	s_cmp_ge_u32 s2, s8
	s_cselect_b32 s2, s4, s2
	s_wait_alu 0xfffe
	s_xor_b32 s2, s2, s3
	s_wait_alu 0xfffe
	s_sub_co_i32 s33, s2, s3
	s_delay_alu instid0(SALU_CYCLE_1)
	s_cmp_lg_u32 s33, 0
	s_cselect_b32 s2, -1, 0
	s_wait_alu 0xfffe
	s_cmp_lg_u32 s2, 0
	s_sub_co_ci_u32 s20, s20, 0
.LBB42_5:
	s_clause 0x1
	s_load_b256 s[4:11], s[0:1], 0x28
	s_load_b64 s[22:23], s[0:1], 0x0
	s_ashr_i32 s27, s26, 31
	s_add_nc_u64 s[2:3], s[0:1], 0x58
	s_lshl_b64 s[0:1], s[28:29], 2
	s_wait_kmcnt 0x0
	s_mul_i32 s4, s24, s4
	s_mul_u64 s[24:25], s[10:11], s[26:27]
	s_ashr_i32 s5, s4, 31
	s_lshl_b64 s[24:25], s[24:25], 1
	s_lshl_b64 s[4:5], s[4:5], 2
	s_cmp_ge_i32 s12, s20
	s_add_nc_u64 s[4:5], s[18:19], s[4:5]
	s_delay_alu instid0(SALU_CYCLE_1)
	s_add_nc_u64 s[18:19], s[4:5], s[0:1]
	s_add_nc_u64 s[4:5], s[16:17], s[24:25]
	s_cbranch_scc1 .LBB42_14
; %bb.6:
	v_cmp_gt_i32_e64 s0, s15, v0
	s_cmp_gt_i32 s14, 0
	s_mov_b32 s17, 0
	s_cselect_b32 s21, -1, 0
	s_branch .LBB42_8
.LBB42_7:                               ;   in Loop: Header=BB42_8 Depth=1
	s_add_co_i32 s12, s12, 1
	s_delay_alu instid0(SALU_CYCLE_1)
	s_cmp_ge_i32 s12, s20
	s_cbranch_scc1 .LBB42_14
.LBB42_8:                               ; =>This Loop Header: Depth=1
                                        ;     Child Loop BB42_11 Depth 2
                                        ;       Child Loop BB42_13 Depth 3
	s_and_not1_b32 vcc_lo, exec_lo, s21
	s_wait_alu 0xfffe
	s_cbranch_vccnz .LBB42_7
; %bb.9:                                ;   in Loop: Header=BB42_8 Depth=1
	s_ashr_i32 s13, s12, 31
	s_mul_i32 s26, s12, s14
	s_lshl_b64 s[24:25], s[12:13], 2
	s_ashr_i32 s27, s26, 31
	s_add_nc_u64 s[24:25], s[18:19], s[24:25]
	s_mul_u64 s[26:27], s[10:11], s[26:27]
	s_load_b32 s24, s[24:25], 0x0
	s_lshl_b64 s[26:27], s[26:27], 1
	s_mov_b32 s16, 0
	s_wait_kmcnt 0x0
	s_ashr_i32 s25, s24, 31
	s_delay_alu instid0(SALU_CYCLE_1) | instskip(NEXT) | instid1(SALU_CYCLE_1)
	s_mul_u64 s[24:25], s[6:7], s[24:25]
	s_lshl_b64 s[28:29], s[24:25], 1
	s_add_nc_u64 s[24:25], s[4:5], s[26:27]
	s_wait_alu 0xfffe
	s_add_nc_u64 s[26:27], s[22:23], s[28:29]
	s_branch .LBB42_11
.LBB42_10:                              ;   in Loop: Header=BB42_11 Depth=2
	s_or_b32 exec_lo, exec_lo, s13
	s_add_co_i32 s16, s16, 1
	s_delay_alu instid0(SALU_CYCLE_1)
	s_cmp_eq_u32 s16, s14
	s_cbranch_scc1 .LBB42_7
.LBB42_11:                              ;   Parent Loop BB42_8 Depth=1
                                        ; =>  This Loop Header: Depth=2
                                        ;       Child Loop BB42_13 Depth 3
	s_and_saveexec_b32 s13, s0
	s_cbranch_execz .LBB42_10
; %bb.12:                               ;   in Loop: Header=BB42_11 Depth=2
	s_load_b32 s1, s[2:3], 0xc
	s_mul_u64 s[28:29], s[8:9], s[16:17]
	s_mul_u64 s[30:31], s[10:11], s[16:17]
	v_mov_b32_e32 v1, v0
	s_wait_alu 0xfffe
	s_lshl_b64 s[28:29], s[28:29], 1
	s_lshl_b64 s[30:31], s[30:31], 1
	s_wait_alu 0xfffe
	s_add_nc_u64 s[28:29], s[26:27], s[28:29]
	s_add_nc_u64 s[30:31], s[24:25], s[30:31]
	s_mov_b32 s35, 0
	s_wait_kmcnt 0x0
	s_and_b32 s34, s1, 0xffff
.LBB42_13:                              ;   Parent Loop BB42_8 Depth=1
                                        ;     Parent Loop BB42_11 Depth=2
                                        ; =>    This Inner Loop Header: Depth=3
	v_ashrrev_i32_e32 v2, 31, v1
	s_delay_alu instid0(VALU_DEP_1) | instskip(SKIP_2) | instid1(VALU_DEP_2)
	v_lshlrev_b64_e32 v[2:3], 1, v[1:2]
	s_wait_alu 0xfffe
	v_add_nc_u32_e32 v1, s34, v1
	v_add_co_u32 v4, vcc_lo, s28, v2
	s_wait_alu 0xfffd
	s_delay_alu instid0(VALU_DEP_3) | instskip(NEXT) | instid1(VALU_DEP_3)
	v_add_co_ci_u32_e64 v5, null, s29, v3, vcc_lo
	v_cmp_le_i32_e32 vcc_lo, s15, v1
	v_add_co_u32 v2, s1, s30, v2
	global_load_u16 v4, v[4:5], off
	s_wait_alu 0xf1ff
	v_add_co_ci_u32_e64 v3, null, s31, v3, s1
	s_or_b32 s35, vcc_lo, s35
	s_wait_loadcnt 0x0
	global_store_b16 v[2:3], v4, off
	s_wait_alu 0xfffe
	s_and_not1_b32 exec_lo, exec_lo, s35
	s_cbranch_execnz .LBB42_13
	s_branch .LBB42_10
.LBB42_14:
	s_cmp_lg_u32 s33, 0
	s_cbranch_scc0 .LBB42_21
; %bb.15:
	s_cmp_lt_i32 s33, 1
	s_cbranch_scc1 .LBB42_21
; %bb.16:
	s_ashr_i32 s21, s20, 31
	s_mul_i32 s16, s20, s14
	s_lshl_b64 s[0:1], s[20:21], 2
	s_ashr_i32 s17, s16, 31
	s_wait_alu 0xfffe
	s_add_nc_u64 s[0:1], s[18:19], s[0:1]
	s_mul_u64 s[16:17], s[10:11], s[16:17]
	s_load_b32 s0, s[0:1], 0x0
	s_mov_b32 s13, 0
	v_cmp_gt_i32_e32 vcc_lo, s15, v0
	s_mov_b32 s12, s13
	s_wait_kmcnt 0x0
	s_ashr_i32 s1, s0, 31
	s_wait_alu 0xfffe
	s_mul_u64 s[0:1], s[6:7], s[0:1]
	s_lshl_b64 s[6:7], s[16:17], 1
	s_wait_alu 0xfffe
	s_lshl_b64 s[0:1], s[0:1], 1
	s_add_nc_u64 s[4:5], s[4:5], s[6:7]
	s_wait_alu 0xfffe
	s_add_nc_u64 s[6:7], s[22:23], s[0:1]
	s_branch .LBB42_18
.LBB42_17:                              ;   in Loop: Header=BB42_18 Depth=1
	s_wait_alu 0xfffe
	s_or_b32 exec_lo, exec_lo, s14
	s_add_co_i32 s12, s12, 1
	s_delay_alu instid0(SALU_CYCLE_1)
	s_cmp_lg_u32 s12, s33
	s_cbranch_scc0 .LBB42_21
.LBB42_18:                              ; =>This Loop Header: Depth=1
                                        ;     Child Loop BB42_20 Depth 2
	s_and_saveexec_b32 s14, vcc_lo
	s_cbranch_execz .LBB42_17
; %bb.19:                               ;   in Loop: Header=BB42_18 Depth=1
	s_load_b32 s20, s[2:3], 0xc
	s_mul_u64 s[0:1], s[8:9], s[12:13]
	s_mul_u64 s[16:17], s[10:11], s[12:13]
	v_mov_b32_e32 v1, v0
	s_wait_alu 0xfffe
	s_lshl_b64 s[0:1], s[0:1], 1
	s_lshl_b64 s[18:19], s[16:17], 1
	s_wait_alu 0xfffe
	s_add_nc_u64 s[16:17], s[6:7], s[0:1]
	s_add_nc_u64 s[18:19], s[4:5], s[18:19]
	s_mov_b32 s21, 0
	s_wait_kmcnt 0x0
	s_and_b32 s20, s20, 0xffff
.LBB42_20:                              ;   Parent Loop BB42_18 Depth=1
                                        ; =>  This Inner Loop Header: Depth=2
	v_ashrrev_i32_e32 v2, 31, v1
	s_delay_alu instid0(VALU_DEP_1) | instskip(SKIP_2) | instid1(VALU_DEP_2)
	v_lshlrev_b64_e32 v[2:3], 1, v[1:2]
	s_wait_alu 0xfffe
	v_add_nc_u32_e32 v1, s20, v1
	v_add_co_u32 v4, s0, s16, v2
	s_wait_alu 0xf1ff
	s_delay_alu instid0(VALU_DEP_3) | instskip(NEXT) | instid1(VALU_DEP_3)
	v_add_co_ci_u32_e64 v5, null, s17, v3, s0
	v_cmp_le_i32_e64 s0, s15, v1
	v_add_co_u32 v2, s1, s18, v2
	global_load_u16 v4, v[4:5], off
	s_wait_alu 0xf1ff
	v_add_co_ci_u32_e64 v3, null, s19, v3, s1
	s_or_b32 s21, s0, s21
	s_wait_loadcnt 0x0
	global_store_b16 v[2:3], v4, off
	s_wait_alu 0xfffe
	s_and_not1_b32 exec_lo, exec_lo, s21
	s_cbranch_execnz .LBB42_20
	s_branch .LBB42_17
.LBB42_21:
	s_endpgm
	.section	.rodata,"a",@progbits
	.p2align	6, 0x0
	.amdhsa_kernel _ZN4vllm30gather_and_maybe_dequant_cacheI14__hip_bfloat16S1_LNS_18Fp8KVCacheDataTypeE0EEEvPKT0_PT_PKiS9_iillllPKfS9_
		.amdhsa_group_segment_fixed_size 0
		.amdhsa_private_segment_fixed_size 0
		.amdhsa_kernarg_size 344
		.amdhsa_user_sgpr_count 2
		.amdhsa_user_sgpr_dispatch_ptr 0
		.amdhsa_user_sgpr_queue_ptr 0
		.amdhsa_user_sgpr_kernarg_segment_ptr 1
		.amdhsa_user_sgpr_dispatch_id 0
		.amdhsa_user_sgpr_private_segment_size 0
		.amdhsa_wavefront_size32 1
		.amdhsa_uses_dynamic_stack 0
		.amdhsa_enable_private_segment 0
		.amdhsa_system_sgpr_workgroup_id_x 1
		.amdhsa_system_sgpr_workgroup_id_y 1
		.amdhsa_system_sgpr_workgroup_id_z 0
		.amdhsa_system_sgpr_workgroup_info 0
		.amdhsa_system_vgpr_workitem_id 0
		.amdhsa_next_free_vgpr 6
		.amdhsa_next_free_sgpr 36
		.amdhsa_reserve_vcc 1
		.amdhsa_float_round_mode_32 0
		.amdhsa_float_round_mode_16_64 0
		.amdhsa_float_denorm_mode_32 3
		.amdhsa_float_denorm_mode_16_64 3
		.amdhsa_fp16_overflow 0
		.amdhsa_workgroup_processor_mode 1
		.amdhsa_memory_ordered 1
		.amdhsa_forward_progress 1
		.amdhsa_inst_pref_size 11
		.amdhsa_round_robin_scheduling 0
		.amdhsa_exception_fp_ieee_invalid_op 0
		.amdhsa_exception_fp_denorm_src 0
		.amdhsa_exception_fp_ieee_div_zero 0
		.amdhsa_exception_fp_ieee_overflow 0
		.amdhsa_exception_fp_ieee_underflow 0
		.amdhsa_exception_fp_ieee_inexact 0
		.amdhsa_exception_int_div_zero 0
	.end_amdhsa_kernel
	.section	.text._ZN4vllm30gather_and_maybe_dequant_cacheI14__hip_bfloat16S1_LNS_18Fp8KVCacheDataTypeE0EEEvPKT0_PT_PKiS9_iillllPKfS9_,"axG",@progbits,_ZN4vllm30gather_and_maybe_dequant_cacheI14__hip_bfloat16S1_LNS_18Fp8KVCacheDataTypeE0EEEvPKT0_PT_PKiS9_iillllPKfS9_,comdat
.Lfunc_end42:
	.size	_ZN4vllm30gather_and_maybe_dequant_cacheI14__hip_bfloat16S1_LNS_18Fp8KVCacheDataTypeE0EEEvPKT0_PT_PKiS9_iillllPKfS9_, .Lfunc_end42-_ZN4vllm30gather_and_maybe_dequant_cacheI14__hip_bfloat16S1_LNS_18Fp8KVCacheDataTypeE0EEEvPKT0_PT_PKiS9_iillllPKfS9_
                                        ; -- End function
	.set _ZN4vllm30gather_and_maybe_dequant_cacheI14__hip_bfloat16S1_LNS_18Fp8KVCacheDataTypeE0EEEvPKT0_PT_PKiS9_iillllPKfS9_.num_vgpr, 6
	.set _ZN4vllm30gather_and_maybe_dequant_cacheI14__hip_bfloat16S1_LNS_18Fp8KVCacheDataTypeE0EEEvPKT0_PT_PKiS9_iillllPKfS9_.num_agpr, 0
	.set _ZN4vllm30gather_and_maybe_dequant_cacheI14__hip_bfloat16S1_LNS_18Fp8KVCacheDataTypeE0EEEvPKT0_PT_PKiS9_iillllPKfS9_.numbered_sgpr, 36
	.set _ZN4vllm30gather_and_maybe_dequant_cacheI14__hip_bfloat16S1_LNS_18Fp8KVCacheDataTypeE0EEEvPKT0_PT_PKiS9_iillllPKfS9_.num_named_barrier, 0
	.set _ZN4vllm30gather_and_maybe_dequant_cacheI14__hip_bfloat16S1_LNS_18Fp8KVCacheDataTypeE0EEEvPKT0_PT_PKiS9_iillllPKfS9_.private_seg_size, 0
	.set _ZN4vllm30gather_and_maybe_dequant_cacheI14__hip_bfloat16S1_LNS_18Fp8KVCacheDataTypeE0EEEvPKT0_PT_PKiS9_iillllPKfS9_.uses_vcc, 1
	.set _ZN4vllm30gather_and_maybe_dequant_cacheI14__hip_bfloat16S1_LNS_18Fp8KVCacheDataTypeE0EEEvPKT0_PT_PKiS9_iillllPKfS9_.uses_flat_scratch, 0
	.set _ZN4vllm30gather_and_maybe_dequant_cacheI14__hip_bfloat16S1_LNS_18Fp8KVCacheDataTypeE0EEEvPKT0_PT_PKiS9_iillllPKfS9_.has_dyn_sized_stack, 0
	.set _ZN4vllm30gather_and_maybe_dequant_cacheI14__hip_bfloat16S1_LNS_18Fp8KVCacheDataTypeE0EEEvPKT0_PT_PKiS9_iillllPKfS9_.has_recursion, 0
	.set _ZN4vllm30gather_and_maybe_dequant_cacheI14__hip_bfloat16S1_LNS_18Fp8KVCacheDataTypeE0EEEvPKT0_PT_PKiS9_iillllPKfS9_.has_indirect_call, 0
	.section	.AMDGPU.csdata,"",@progbits
; Kernel info:
; codeLenInByte = 1368
; TotalNumSgprs: 38
; NumVgprs: 6
; ScratchSize: 0
; MemoryBound: 0
; FloatMode: 240
; IeeeMode: 1
; LDSByteSize: 0 bytes/workgroup (compile time only)
; SGPRBlocks: 0
; VGPRBlocks: 0
; NumSGPRsForWavesPerEU: 38
; NumVGPRsForWavesPerEU: 6
; Occupancy: 16
; WaveLimiterHint : 1
; COMPUTE_PGM_RSRC2:SCRATCH_EN: 0
; COMPUTE_PGM_RSRC2:USER_SGPR: 2
; COMPUTE_PGM_RSRC2:TRAP_HANDLER: 0
; COMPUTE_PGM_RSRC2:TGID_X_EN: 1
; COMPUTE_PGM_RSRC2:TGID_Y_EN: 1
; COMPUTE_PGM_RSRC2:TGID_Z_EN: 0
; COMPUTE_PGM_RSRC2:TIDIG_COMP_CNT: 0
	.section	.text._ZN4vllm30gather_and_maybe_dequant_cacheIfhLNS_18Fp8KVCacheDataTypeE1EEEvPKT0_PT_PKiS8_iillllPKfS8_,"axG",@progbits,_ZN4vllm30gather_and_maybe_dequant_cacheIfhLNS_18Fp8KVCacheDataTypeE1EEEvPKT0_PT_PKiS8_iillllPKfS8_,comdat
	.protected	_ZN4vllm30gather_and_maybe_dequant_cacheIfhLNS_18Fp8KVCacheDataTypeE1EEEvPKT0_PT_PKiS8_iillllPKfS8_ ; -- Begin function _ZN4vllm30gather_and_maybe_dequant_cacheIfhLNS_18Fp8KVCacheDataTypeE1EEEvPKT0_PT_PKiS8_iillllPKfS8_
	.globl	_ZN4vllm30gather_and_maybe_dequant_cacheIfhLNS_18Fp8KVCacheDataTypeE1EEEvPKT0_PT_PKiS8_iillllPKfS8_
	.p2align	8
	.type	_ZN4vllm30gather_and_maybe_dequant_cacheIfhLNS_18Fp8KVCacheDataTypeE1EEEvPKT0_PT_PKiS8_iillllPKfS8_,@function
_ZN4vllm30gather_and_maybe_dequant_cacheIfhLNS_18Fp8KVCacheDataTypeE1EEEvPKT0_PT_PKiS8_iillllPKfS8_: ; @_ZN4vllm30gather_and_maybe_dequant_cacheIfhLNS_18Fp8KVCacheDataTypeE1EEEvPKT0_PT_PKiS8_iillllPKfS8_
; %bb.0:
	s_clause 0x1
	s_load_b128 s[12:15], s[0:1], 0x18
	s_load_b32 s16, s[0:1], 0x5c
	s_mov_b32 s5, 0
	s_mov_b32 s26, ttmp9
	s_mov_b32 s27, s5
	s_delay_alu instid0(SALU_CYCLE_1)
	s_lshl_b64 s[2:3], s[26:27], 2
	s_wait_kmcnt 0x0
	s_abs_i32 s8, s14
	s_add_nc_u64 s[6:7], s[12:13], s[2:3]
	s_cvt_f32_u32 s4, s8
	s_load_b64 s[28:29], s[6:7], 0x0
	s_sub_co_i32 s6, 0, s8
	s_ashr_i32 s10, s14, 31
	v_rcp_iflag_f32_e32 v1, s4
	s_delay_alu instid0(TRANS32_DEP_1) | instskip(SKIP_3) | instid1(SALU_CYCLE_1)
	v_readfirstlane_b32 s4, v1
	s_mul_f32 s4, s4, 0x4f7ffffe
	s_wait_kmcnt 0x0
	s_sub_co_i32 s9, s29, s28
	s_add_co_i32 s7, s14, s9
	s_wait_alu 0xfffe
	s_cvt_u32_f32 s4, s4
	s_add_co_i32 s7, s7, -1
	s_delay_alu instid0(SALU_CYCLE_1)
	s_abs_i32 s11, s7
	s_wait_alu 0xfffe
	s_mul_i32 s6, s6, s4
	s_ashr_i32 s7, s7, 31
	s_mul_hi_u32 s6, s4, s6
	s_xor_b32 s7, s7, s10
	s_add_co_i32 s4, s4, s6
	s_wait_alu 0xfffe
	s_mul_hi_u32 s6, s11, s4
	s_delay_alu instid0(SALU_CYCLE_1) | instskip(NEXT) | instid1(SALU_CYCLE_1)
	s_mul_i32 s12, s6, s8
	s_sub_co_i32 s11, s11, s12
	s_add_co_i32 s12, s6, 1
	s_sub_co_i32 s13, s11, s8
	s_cmp_ge_u32 s11, s8
	s_cselect_b32 s6, s12, s6
	s_cselect_b32 s11, s13, s11
	s_add_co_i32 s12, s6, 1
	s_cmp_ge_u32 s11, s8
	s_cselect_b32 s6, s12, s6
	s_abs_i32 s12, s16
	s_xor_b32 s6, s6, s7
	s_cvt_f32_u32 s11, s12
	s_delay_alu instid0(SALU_CYCLE_3) | instskip(NEXT) | instid1(TRANS32_DEP_1)
	v_rcp_iflag_f32_e32 v1, s11
	v_readfirstlane_b32 s11, v1
	s_mul_f32 s11, s11, 0x4f7ffffe
	s_wait_alu 0xfffe
	s_delay_alu instid0(SALU_CYCLE_2)
	s_cvt_u32_f32 s13, s11
	s_sub_co_i32 s11, s6, s7
	s_sub_co_i32 s6, 0, s12
	s_wait_alu 0xfffe
	s_add_co_i32 s7, s16, s11
	s_mul_i32 s6, s6, s13
	s_add_co_i32 s7, s7, -1
	s_mul_hi_u32 s6, s13, s6
	s_abs_i32 s17, s7
	s_add_co_i32 s13, s13, s6
	s_xor_b32 s7, s7, s16
	s_mul_hi_u32 s6, s17, s13
	s_ashr_i32 s7, s7, 31
	s_mul_i32 s13, s6, s12
	s_add_co_i32 s16, s6, 1
	s_sub_co_i32 s13, s17, s13
	s_delay_alu instid0(SALU_CYCLE_1)
	s_sub_co_i32 s17, s13, s12
	s_cmp_ge_u32 s13, s12
	s_cselect_b32 s6, s16, s6
	s_cselect_b32 s13, s17, s13
	s_add_co_i32 s16, s6, 1
	s_cmp_ge_u32 s13, s12
	s_cselect_b32 s6, s16, s6
	s_delay_alu instid0(SALU_CYCLE_1) | instskip(NEXT) | instid1(SALU_CYCLE_1)
	s_xor_b32 s6, s6, s7
	s_sub_co_i32 s12, s6, s7
	s_delay_alu instid0(SALU_CYCLE_1) | instskip(NEXT) | instid1(SALU_CYCLE_1)
	s_mul_i32 s20, s12, ttmp7
	s_cmp_ge_i32 s20, s11
	s_cbranch_scc1 .LBB43_21
; %bb.1:
	s_load_b64 s[6:7], s[0:1], 0x50
	s_mov_b64 s[30:31], 0
	s_wait_kmcnt 0x0
	s_cmp_eq_u64 s[6:7], 0
	s_cbranch_scc1 .LBB43_3
; %bb.2:
	s_add_nc_u64 s[2:3], s[6:7], s[2:3]
	s_load_b32 s13, s[2:3], 0x0
	s_mov_b32 s3, 0
	s_wait_kmcnt 0x0
	s_abs_i32 s2, s13
	s_delay_alu instid0(SALU_CYCLE_1)
	s_mul_u64 s[6:7], s[2:3], s[4:5]
	s_ashr_i32 s3, s13, 31
	s_mul_i32 s6, s7, s8
	s_xor_b32 s3, s3, s10
	s_sub_co_i32 s2, s2, s6
	s_add_co_i32 s6, s7, 1
	s_sub_co_i32 s10, s2, s8
	s_cmp_ge_u32 s2, s8
	s_cselect_b32 s6, s6, s7
	s_wait_alu 0xfffe
	s_cselect_b32 s2, s10, s2
	s_add_co_i32 s7, s6, 1
	s_cmp_ge_u32 s2, s8
	s_cselect_b32 s2, s7, s6
	s_delay_alu instid0(SALU_CYCLE_1) | instskip(NEXT) | instid1(SALU_CYCLE_1)
	s_xor_b32 s2, s2, s3
	s_sub_co_i32 s30, s2, s3
	s_delay_alu instid0(SALU_CYCLE_1)
	s_ashr_i32 s31, s30, 31
.LBB43_3:
	s_clause 0x1
	s_load_b64 s[2:3], s[0:1], 0x48
	s_load_b128 s[16:19], s[0:1], 0x8
	s_add_co_i32 s6, s20, s12
	s_mov_b32 s33, 0
	s_min_i32 s22, s6, s11
	s_cmp_gt_i32 s11, s6
	s_cbranch_scc1 .LBB43_5
; %bb.4:
	s_abs_i32 s6, s9
	s_mov_b32 s7, 0
	s_delay_alu instid0(SALU_CYCLE_1)
	s_mul_u64 s[4:5], s[6:7], s[4:5]
	s_wait_alu 0xfffe
	s_mul_i32 s4, s5, s8
	s_ashr_i32 s5, s9, 31
	s_wait_alu 0xfffe
	s_sub_co_i32 s4, s6, s4
	s_wait_alu 0xfffe
	s_sub_co_i32 s6, s4, s8
	s_cmp_ge_u32 s4, s8
	s_cselect_b32 s4, s6, s4
	s_wait_alu 0xfffe
	s_sub_co_i32 s6, s4, s8
	s_cmp_ge_u32 s4, s8
	s_cselect_b32 s4, s6, s4
	s_wait_alu 0xfffe
	s_xor_b32 s4, s4, s5
	s_wait_alu 0xfffe
	s_sub_co_i32 s33, s4, s5
	s_delay_alu instid0(SALU_CYCLE_1)
	s_cmp_lg_u32 s33, 0
	s_cselect_b32 s4, -1, 0
	s_wait_alu 0xfffe
	s_cmp_lg_u32 s4, 0
	s_sub_co_ci_u32 s22, s22, 0
.LBB43_5:
	s_clause 0x1
	s_load_b256 s[4:11], s[0:1], 0x28
	s_load_b64 s[24:25], s[0:1], 0x0
	s_ashr_i32 s29, s28, 31
	s_add_nc_u64 s[12:13], s[0:1], 0x58
	s_lshl_b64 s[0:1], s[30:31], 2
	s_wait_kmcnt 0x0
	s_mul_i32 s4, s26, s4
	s_mul_u64 s[26:27], s[10:11], s[28:29]
	s_wait_alu 0xfffe
	s_ashr_i32 s5, s4, 31
	s_lshl_b64 s[26:27], s[26:27], 2
	s_wait_alu 0xfffe
	s_lshl_b64 s[4:5], s[4:5], 2
	s_cmp_ge_i32 s20, s22
	s_wait_alu 0xfffe
	s_add_nc_u64 s[4:5], s[18:19], s[4:5]
	s_wait_alu 0xfffe
	s_add_nc_u64 s[18:19], s[4:5], s[0:1]
	s_add_nc_u64 s[4:5], s[16:17], s[26:27]
	s_cbranch_scc1 .LBB43_14
; %bb.6:
	v_cmp_gt_i32_e64 s0, s15, v0
	s_cmp_gt_i32 s14, 0
	s_mov_b32 s17, 0
	s_cselect_b32 s23, -1, 0
	s_branch .LBB43_8
.LBB43_7:                               ;   in Loop: Header=BB43_8 Depth=1
	s_add_co_i32 s20, s20, 1
	s_delay_alu instid0(SALU_CYCLE_1)
	s_cmp_ge_i32 s20, s22
	s_cbranch_scc1 .LBB43_14
.LBB43_8:                               ; =>This Loop Header: Depth=1
                                        ;     Child Loop BB43_11 Depth 2
                                        ;       Child Loop BB43_13 Depth 3
	s_and_not1_b32 vcc_lo, exec_lo, s23
	s_wait_alu 0xfffe
	s_cbranch_vccnz .LBB43_7
; %bb.9:                                ;   in Loop: Header=BB43_8 Depth=1
	s_ashr_i32 s21, s20, 31
	s_mul_i32 s28, s20, s14
	s_lshl_b64 s[26:27], s[20:21], 2
	s_ashr_i32 s29, s28, 31
	s_add_nc_u64 s[26:27], s[18:19], s[26:27]
	s_mul_u64 s[28:29], s[10:11], s[28:29]
	s_load_b32 s26, s[26:27], 0x0
	s_lshl_b64 s[28:29], s[28:29], 2
	s_mov_b32 s16, 0
	s_wait_kmcnt 0x0
	s_ashr_i32 s27, s26, 31
	s_delay_alu instid0(SALU_CYCLE_1)
	s_mul_u64 s[30:31], s[6:7], s[26:27]
	s_add_nc_u64 s[26:27], s[4:5], s[28:29]
	s_wait_alu 0xfffe
	s_add_nc_u64 s[28:29], s[24:25], s[30:31]
	s_branch .LBB43_11
.LBB43_10:                              ;   in Loop: Header=BB43_11 Depth=2
	s_or_b32 exec_lo, exec_lo, s21
	s_add_co_i32 s16, s16, 1
	s_delay_alu instid0(SALU_CYCLE_1)
	s_cmp_eq_u32 s16, s14
	s_cbranch_scc1 .LBB43_7
.LBB43_11:                              ;   Parent Loop BB43_8 Depth=1
                                        ; =>  This Loop Header: Depth=2
                                        ;       Child Loop BB43_13 Depth 3
	s_and_saveexec_b32 s21, s0
	s_cbranch_execz .LBB43_10
; %bb.12:                               ;   in Loop: Header=BB43_11 Depth=2
	s_load_b32 s1, s[12:13], 0xc
	s_load_b32 s36, s[2:3], 0x0
	s_mul_u64 s[34:35], s[10:11], s[16:17]
	v_mov_b32_e32 v1, v0
	s_mul_u64 s[30:31], s[8:9], s[16:17]
	s_wait_alu 0xfffe
	s_lshl_b64 s[34:35], s[34:35], 2
	s_add_nc_u64 s[30:31], s[28:29], s[30:31]
	s_wait_alu 0xfffe
	s_add_nc_u64 s[34:35], s[26:27], s[34:35]
	s_mov_b32 s38, 0
	s_wait_kmcnt 0x0
	s_and_b32 s37, s1, 0xffff
.LBB43_13:                              ;   Parent Loop BB43_8 Depth=1
                                        ;     Parent Loop BB43_11 Depth=2
                                        ; =>    This Inner Loop Header: Depth=3
	v_ashrrev_i32_e32 v2, 31, v1
	v_add_co_u32 v3, vcc_lo, s30, v1
	s_wait_alu 0xfffd
	s_delay_alu instid0(VALU_DEP_2) | instskip(SKIP_3) | instid1(VALU_DEP_1)
	v_add_co_ci_u32_e64 v4, null, s31, v2, vcc_lo
	global_load_u8 v4, v[3:4], off
	v_lshlrev_b64_e32 v[2:3], 2, v[1:2]
	s_wait_alu 0xfffe
	v_add_co_u32 v2, s1, s34, v2
	s_wait_alu 0xf1ff
	s_delay_alu instid0(VALU_DEP_2) | instskip(SKIP_2) | instid1(VALU_DEP_1)
	v_add_co_ci_u32_e64 v3, null, s35, v3, s1
	s_wait_loadcnt 0x0
	v_cvt_f32_fp8_e32 v4, v4
	v_dual_mul_f32 v4, s36, v4 :: v_dual_add_nc_u32 v1, s37, v1
	s_delay_alu instid0(VALU_DEP_1) | instskip(SKIP_2) | instid1(SALU_CYCLE_1)
	v_cmp_le_i32_e32 vcc_lo, s15, v1
	global_store_b32 v[2:3], v4, off
	s_or_b32 s38, vcc_lo, s38
	s_and_not1_b32 exec_lo, exec_lo, s38
	s_cbranch_execnz .LBB43_13
	s_branch .LBB43_10
.LBB43_14:
	s_cmp_lg_u32 s33, 0
	s_cbranch_scc0 .LBB43_21
; %bb.15:
	s_cmp_lt_i32 s33, 1
	s_cbranch_scc1 .LBB43_21
; %bb.16:
	s_ashr_i32 s23, s22, 31
	s_mov_b32 s17, 0
	s_lshl_b64 s[0:1], s[22:23], 2
	s_mov_b32 s16, s17
	s_wait_alu 0xfffe
	s_add_nc_u64 s[0:1], s[18:19], s[0:1]
	s_mul_i32 s18, s22, s14
	s_load_b32 s0, s[0:1], 0x0
	s_ashr_i32 s19, s18, 31
	v_cmp_gt_i32_e32 vcc_lo, s15, v0
	s_mul_u64 s[18:19], s[10:11], s[18:19]
	s_delay_alu instid0(SALU_CYCLE_1) | instskip(NEXT) | instid1(SALU_CYCLE_1)
	s_lshl_b64 s[18:19], s[18:19], 2
	s_add_nc_u64 s[4:5], s[4:5], s[18:19]
	s_wait_kmcnt 0x0
	s_ashr_i32 s1, s0, 31
	s_wait_alu 0xfffe
	s_mul_u64 s[0:1], s[6:7], s[0:1]
	s_wait_alu 0xfffe
	s_add_nc_u64 s[6:7], s[24:25], s[0:1]
	s_branch .LBB43_18
.LBB43_17:                              ;   in Loop: Header=BB43_18 Depth=1
	s_wait_alu 0xfffe
	s_or_b32 exec_lo, exec_lo, s14
	s_add_co_i32 s16, s16, 1
	s_delay_alu instid0(SALU_CYCLE_1)
	s_cmp_lg_u32 s16, s33
	s_cbranch_scc0 .LBB43_21
.LBB43_18:                              ; =>This Loop Header: Depth=1
                                        ;     Child Loop BB43_20 Depth 2
	s_and_saveexec_b32 s14, vcc_lo
	s_cbranch_execz .LBB43_17
; %bb.19:                               ;   in Loop: Header=BB43_18 Depth=1
	s_load_b32 s23, s[12:13], 0xc
	s_load_b32 s22, s[2:3], 0x0
	s_mul_u64 s[18:19], s[10:11], s[16:17]
	v_mov_b32_e32 v1, v0
	s_mul_u64 s[0:1], s[8:9], s[16:17]
	s_wait_alu 0xfffe
	s_lshl_b64 s[20:21], s[18:19], 2
	s_add_nc_u64 s[18:19], s[6:7], s[0:1]
	s_wait_alu 0xfffe
	s_add_nc_u64 s[20:21], s[4:5], s[20:21]
	s_mov_b32 s24, 0
	s_wait_kmcnt 0x0
	s_and_b32 s23, s23, 0xffff
.LBB43_20:                              ;   Parent Loop BB43_18 Depth=1
                                        ; =>  This Inner Loop Header: Depth=2
	v_ashrrev_i32_e32 v2, 31, v1
	v_add_co_u32 v3, s0, s18, v1
	s_wait_alu 0xf1ff
	s_delay_alu instid0(VALU_DEP_2) | instskip(SKIP_3) | instid1(VALU_DEP_1)
	v_add_co_ci_u32_e64 v4, null, s19, v2, s0
	global_load_u8 v4, v[3:4], off
	v_lshlrev_b64_e32 v[2:3], 2, v[1:2]
	s_wait_alu 0xfffe
	v_add_co_u32 v2, s1, s20, v2
	s_wait_alu 0xf1ff
	s_delay_alu instid0(VALU_DEP_2) | instskip(SKIP_2) | instid1(VALU_DEP_1)
	v_add_co_ci_u32_e64 v3, null, s21, v3, s1
	s_wait_loadcnt 0x0
	v_cvt_f32_fp8_e32 v4, v4
	v_dual_mul_f32 v4, s22, v4 :: v_dual_add_nc_u32 v1, s23, v1
	s_delay_alu instid0(VALU_DEP_1) | instskip(SKIP_2) | instid1(SALU_CYCLE_1)
	v_cmp_le_i32_e64 s0, s15, v1
	global_store_b32 v[2:3], v4, off
	s_or_b32 s24, s0, s24
	s_and_not1_b32 exec_lo, exec_lo, s24
	s_cbranch_execnz .LBB43_20
	s_branch .LBB43_17
.LBB43_21:
	s_endpgm
	.section	.rodata,"a",@progbits
	.p2align	6, 0x0
	.amdhsa_kernel _ZN4vllm30gather_and_maybe_dequant_cacheIfhLNS_18Fp8KVCacheDataTypeE1EEEvPKT0_PT_PKiS8_iillllPKfS8_
		.amdhsa_group_segment_fixed_size 0
		.amdhsa_private_segment_fixed_size 0
		.amdhsa_kernarg_size 344
		.amdhsa_user_sgpr_count 2
		.amdhsa_user_sgpr_dispatch_ptr 0
		.amdhsa_user_sgpr_queue_ptr 0
		.amdhsa_user_sgpr_kernarg_segment_ptr 1
		.amdhsa_user_sgpr_dispatch_id 0
		.amdhsa_user_sgpr_private_segment_size 0
		.amdhsa_wavefront_size32 1
		.amdhsa_uses_dynamic_stack 0
		.amdhsa_enable_private_segment 0
		.amdhsa_system_sgpr_workgroup_id_x 1
		.amdhsa_system_sgpr_workgroup_id_y 1
		.amdhsa_system_sgpr_workgroup_id_z 0
		.amdhsa_system_sgpr_workgroup_info 0
		.amdhsa_system_vgpr_workitem_id 0
		.amdhsa_next_free_vgpr 5
		.amdhsa_next_free_sgpr 39
		.amdhsa_reserve_vcc 1
		.amdhsa_float_round_mode_32 0
		.amdhsa_float_round_mode_16_64 0
		.amdhsa_float_denorm_mode_32 3
		.amdhsa_float_denorm_mode_16_64 3
		.amdhsa_fp16_overflow 0
		.amdhsa_workgroup_processor_mode 1
		.amdhsa_memory_ordered 1
		.amdhsa_forward_progress 1
		.amdhsa_inst_pref_size 11
		.amdhsa_round_robin_scheduling 0
		.amdhsa_exception_fp_ieee_invalid_op 0
		.amdhsa_exception_fp_denorm_src 0
		.amdhsa_exception_fp_ieee_div_zero 0
		.amdhsa_exception_fp_ieee_overflow 0
		.amdhsa_exception_fp_ieee_underflow 0
		.amdhsa_exception_fp_ieee_inexact 0
		.amdhsa_exception_int_div_zero 0
	.end_amdhsa_kernel
	.section	.text._ZN4vllm30gather_and_maybe_dequant_cacheIfhLNS_18Fp8KVCacheDataTypeE1EEEvPKT0_PT_PKiS8_iillllPKfS8_,"axG",@progbits,_ZN4vllm30gather_and_maybe_dequant_cacheIfhLNS_18Fp8KVCacheDataTypeE1EEEvPKT0_PT_PKiS8_iillllPKfS8_,comdat
.Lfunc_end43:
	.size	_ZN4vllm30gather_and_maybe_dequant_cacheIfhLNS_18Fp8KVCacheDataTypeE1EEEvPKT0_PT_PKiS8_iillllPKfS8_, .Lfunc_end43-_ZN4vllm30gather_and_maybe_dequant_cacheIfhLNS_18Fp8KVCacheDataTypeE1EEEvPKT0_PT_PKiS8_iillllPKfS8_
                                        ; -- End function
	.set _ZN4vllm30gather_and_maybe_dequant_cacheIfhLNS_18Fp8KVCacheDataTypeE1EEEvPKT0_PT_PKiS8_iillllPKfS8_.num_vgpr, 5
	.set _ZN4vllm30gather_and_maybe_dequant_cacheIfhLNS_18Fp8KVCacheDataTypeE1EEEvPKT0_PT_PKiS8_iillllPKfS8_.num_agpr, 0
	.set _ZN4vllm30gather_and_maybe_dequant_cacheIfhLNS_18Fp8KVCacheDataTypeE1EEEvPKT0_PT_PKiS8_iillllPKfS8_.numbered_sgpr, 39
	.set _ZN4vllm30gather_and_maybe_dequant_cacheIfhLNS_18Fp8KVCacheDataTypeE1EEEvPKT0_PT_PKiS8_iillllPKfS8_.num_named_barrier, 0
	.set _ZN4vllm30gather_and_maybe_dequant_cacheIfhLNS_18Fp8KVCacheDataTypeE1EEEvPKT0_PT_PKiS8_iillllPKfS8_.private_seg_size, 0
	.set _ZN4vllm30gather_and_maybe_dequant_cacheIfhLNS_18Fp8KVCacheDataTypeE1EEEvPKT0_PT_PKiS8_iillllPKfS8_.uses_vcc, 1
	.set _ZN4vllm30gather_and_maybe_dequant_cacheIfhLNS_18Fp8KVCacheDataTypeE1EEEvPKT0_PT_PKiS8_iillllPKfS8_.uses_flat_scratch, 0
	.set _ZN4vllm30gather_and_maybe_dequant_cacheIfhLNS_18Fp8KVCacheDataTypeE1EEEvPKT0_PT_PKiS8_iillllPKfS8_.has_dyn_sized_stack, 0
	.set _ZN4vllm30gather_and_maybe_dequant_cacheIfhLNS_18Fp8KVCacheDataTypeE1EEEvPKT0_PT_PKiS8_iillllPKfS8_.has_recursion, 0
	.set _ZN4vllm30gather_and_maybe_dequant_cacheIfhLNS_18Fp8KVCacheDataTypeE1EEEvPKT0_PT_PKiS8_iillllPKfS8_.has_indirect_call, 0
	.section	.AMDGPU.csdata,"",@progbits
; Kernel info:
; codeLenInByte = 1408
; TotalNumSgprs: 41
; NumVgprs: 5
; ScratchSize: 0
; MemoryBound: 0
; FloatMode: 240
; IeeeMode: 1
; LDSByteSize: 0 bytes/workgroup (compile time only)
; SGPRBlocks: 0
; VGPRBlocks: 0
; NumSGPRsForWavesPerEU: 41
; NumVGPRsForWavesPerEU: 5
; Occupancy: 16
; WaveLimiterHint : 1
; COMPUTE_PGM_RSRC2:SCRATCH_EN: 0
; COMPUTE_PGM_RSRC2:USER_SGPR: 2
; COMPUTE_PGM_RSRC2:TRAP_HANDLER: 0
; COMPUTE_PGM_RSRC2:TGID_X_EN: 1
; COMPUTE_PGM_RSRC2:TGID_Y_EN: 1
; COMPUTE_PGM_RSRC2:TGID_Z_EN: 0
; COMPUTE_PGM_RSRC2:TIDIG_COMP_CNT: 0
	.section	.text._ZN4vllm30gather_and_maybe_dequant_cacheIthLNS_18Fp8KVCacheDataTypeE1EEEvPKT0_PT_PKiS8_iillllPKfS8_,"axG",@progbits,_ZN4vllm30gather_and_maybe_dequant_cacheIthLNS_18Fp8KVCacheDataTypeE1EEEvPKT0_PT_PKiS8_iillllPKfS8_,comdat
	.protected	_ZN4vllm30gather_and_maybe_dequant_cacheIthLNS_18Fp8KVCacheDataTypeE1EEEvPKT0_PT_PKiS8_iillllPKfS8_ ; -- Begin function _ZN4vllm30gather_and_maybe_dequant_cacheIthLNS_18Fp8KVCacheDataTypeE1EEEvPKT0_PT_PKiS8_iillllPKfS8_
	.globl	_ZN4vllm30gather_and_maybe_dequant_cacheIthLNS_18Fp8KVCacheDataTypeE1EEEvPKT0_PT_PKiS8_iillllPKfS8_
	.p2align	8
	.type	_ZN4vllm30gather_and_maybe_dequant_cacheIthLNS_18Fp8KVCacheDataTypeE1EEEvPKT0_PT_PKiS8_iillllPKfS8_,@function
_ZN4vllm30gather_and_maybe_dequant_cacheIthLNS_18Fp8KVCacheDataTypeE1EEEvPKT0_PT_PKiS8_iillllPKfS8_: ; @_ZN4vllm30gather_and_maybe_dequant_cacheIthLNS_18Fp8KVCacheDataTypeE1EEEvPKT0_PT_PKiS8_iillllPKfS8_
; %bb.0:
	s_clause 0x1
	s_load_b128 s[12:15], s[0:1], 0x18
	s_load_b32 s16, s[0:1], 0x5c
	s_mov_b32 s5, 0
	s_mov_b32 s26, ttmp9
	s_mov_b32 s27, s5
	s_delay_alu instid0(SALU_CYCLE_1)
	s_lshl_b64 s[2:3], s[26:27], 2
	s_wait_kmcnt 0x0
	s_abs_i32 s8, s14
	s_add_nc_u64 s[6:7], s[12:13], s[2:3]
	s_cvt_f32_u32 s4, s8
	s_load_b64 s[28:29], s[6:7], 0x0
	s_sub_co_i32 s6, 0, s8
	s_ashr_i32 s10, s14, 31
	v_rcp_iflag_f32_e32 v1, s4
	s_delay_alu instid0(TRANS32_DEP_1) | instskip(SKIP_3) | instid1(SALU_CYCLE_1)
	v_readfirstlane_b32 s4, v1
	s_mul_f32 s4, s4, 0x4f7ffffe
	s_wait_kmcnt 0x0
	s_sub_co_i32 s9, s29, s28
	s_add_co_i32 s7, s14, s9
	s_wait_alu 0xfffe
	s_cvt_u32_f32 s4, s4
	s_add_co_i32 s7, s7, -1
	s_delay_alu instid0(SALU_CYCLE_1)
	s_abs_i32 s11, s7
	s_wait_alu 0xfffe
	s_mul_i32 s6, s6, s4
	s_ashr_i32 s7, s7, 31
	s_mul_hi_u32 s6, s4, s6
	s_xor_b32 s7, s7, s10
	s_add_co_i32 s4, s4, s6
	s_wait_alu 0xfffe
	s_mul_hi_u32 s6, s11, s4
	s_delay_alu instid0(SALU_CYCLE_1) | instskip(NEXT) | instid1(SALU_CYCLE_1)
	s_mul_i32 s12, s6, s8
	s_sub_co_i32 s11, s11, s12
	s_add_co_i32 s12, s6, 1
	s_sub_co_i32 s13, s11, s8
	s_cmp_ge_u32 s11, s8
	s_cselect_b32 s6, s12, s6
	s_cselect_b32 s11, s13, s11
	s_add_co_i32 s12, s6, 1
	s_cmp_ge_u32 s11, s8
	s_cselect_b32 s6, s12, s6
	s_abs_i32 s12, s16
	s_xor_b32 s6, s6, s7
	s_cvt_f32_u32 s11, s12
	s_delay_alu instid0(SALU_CYCLE_3) | instskip(NEXT) | instid1(TRANS32_DEP_1)
	v_rcp_iflag_f32_e32 v1, s11
	v_readfirstlane_b32 s11, v1
	s_mul_f32 s11, s11, 0x4f7ffffe
	s_wait_alu 0xfffe
	s_delay_alu instid0(SALU_CYCLE_2)
	s_cvt_u32_f32 s13, s11
	s_sub_co_i32 s11, s6, s7
	s_sub_co_i32 s6, 0, s12
	s_wait_alu 0xfffe
	s_add_co_i32 s7, s16, s11
	s_mul_i32 s6, s6, s13
	s_add_co_i32 s7, s7, -1
	s_mul_hi_u32 s6, s13, s6
	s_abs_i32 s17, s7
	s_add_co_i32 s13, s13, s6
	s_xor_b32 s7, s7, s16
	s_mul_hi_u32 s6, s17, s13
	s_ashr_i32 s7, s7, 31
	s_mul_i32 s13, s6, s12
	s_add_co_i32 s16, s6, 1
	s_sub_co_i32 s13, s17, s13
	s_delay_alu instid0(SALU_CYCLE_1)
	s_sub_co_i32 s17, s13, s12
	s_cmp_ge_u32 s13, s12
	s_cselect_b32 s6, s16, s6
	s_cselect_b32 s13, s17, s13
	s_add_co_i32 s16, s6, 1
	s_cmp_ge_u32 s13, s12
	s_cselect_b32 s6, s16, s6
	s_delay_alu instid0(SALU_CYCLE_1) | instskip(NEXT) | instid1(SALU_CYCLE_1)
	s_xor_b32 s6, s6, s7
	s_sub_co_i32 s12, s6, s7
	s_delay_alu instid0(SALU_CYCLE_1) | instskip(NEXT) | instid1(SALU_CYCLE_1)
	s_mul_i32 s20, s12, ttmp7
	s_cmp_ge_i32 s20, s11
	s_cbranch_scc1 .LBB44_21
; %bb.1:
	s_load_b64 s[6:7], s[0:1], 0x50
	s_mov_b64 s[30:31], 0
	s_wait_kmcnt 0x0
	s_cmp_eq_u64 s[6:7], 0
	s_cbranch_scc1 .LBB44_3
; %bb.2:
	s_add_nc_u64 s[2:3], s[6:7], s[2:3]
	s_load_b32 s13, s[2:3], 0x0
	s_mov_b32 s3, 0
	s_wait_kmcnt 0x0
	s_abs_i32 s2, s13
	s_delay_alu instid0(SALU_CYCLE_1)
	s_mul_u64 s[6:7], s[2:3], s[4:5]
	s_ashr_i32 s3, s13, 31
	s_mul_i32 s6, s7, s8
	s_xor_b32 s3, s3, s10
	s_sub_co_i32 s2, s2, s6
	s_add_co_i32 s6, s7, 1
	s_sub_co_i32 s10, s2, s8
	s_cmp_ge_u32 s2, s8
	s_cselect_b32 s6, s6, s7
	s_wait_alu 0xfffe
	s_cselect_b32 s2, s10, s2
	s_add_co_i32 s7, s6, 1
	s_cmp_ge_u32 s2, s8
	s_cselect_b32 s2, s7, s6
	s_delay_alu instid0(SALU_CYCLE_1) | instskip(NEXT) | instid1(SALU_CYCLE_1)
	s_xor_b32 s2, s2, s3
	s_sub_co_i32 s30, s2, s3
	s_delay_alu instid0(SALU_CYCLE_1)
	s_ashr_i32 s31, s30, 31
.LBB44_3:
	s_clause 0x1
	s_load_b64 s[2:3], s[0:1], 0x48
	s_load_b128 s[16:19], s[0:1], 0x8
	s_add_co_i32 s6, s20, s12
	s_mov_b32 s33, 0
	s_min_i32 s22, s6, s11
	s_cmp_gt_i32 s11, s6
	s_cbranch_scc1 .LBB44_5
; %bb.4:
	s_abs_i32 s6, s9
	s_mov_b32 s7, 0
	s_delay_alu instid0(SALU_CYCLE_1)
	s_mul_u64 s[4:5], s[6:7], s[4:5]
	s_wait_alu 0xfffe
	s_mul_i32 s4, s5, s8
	s_ashr_i32 s5, s9, 31
	s_wait_alu 0xfffe
	s_sub_co_i32 s4, s6, s4
	s_wait_alu 0xfffe
	s_sub_co_i32 s6, s4, s8
	s_cmp_ge_u32 s4, s8
	s_cselect_b32 s4, s6, s4
	s_wait_alu 0xfffe
	s_sub_co_i32 s6, s4, s8
	s_cmp_ge_u32 s4, s8
	s_cselect_b32 s4, s6, s4
	s_wait_alu 0xfffe
	s_xor_b32 s4, s4, s5
	s_wait_alu 0xfffe
	s_sub_co_i32 s33, s4, s5
	s_delay_alu instid0(SALU_CYCLE_1)
	s_cmp_lg_u32 s33, 0
	s_cselect_b32 s4, -1, 0
	s_wait_alu 0xfffe
	s_cmp_lg_u32 s4, 0
	s_sub_co_ci_u32 s22, s22, 0
.LBB44_5:
	s_clause 0x1
	s_load_b256 s[4:11], s[0:1], 0x28
	s_load_b64 s[24:25], s[0:1], 0x0
	s_ashr_i32 s29, s28, 31
	s_add_nc_u64 s[12:13], s[0:1], 0x58
	s_lshl_b64 s[0:1], s[30:31], 2
	s_wait_kmcnt 0x0
	s_mul_i32 s4, s26, s4
	s_mul_u64 s[26:27], s[10:11], s[28:29]
	s_wait_alu 0xfffe
	s_ashr_i32 s5, s4, 31
	s_lshl_b64 s[26:27], s[26:27], 1
	s_wait_alu 0xfffe
	s_lshl_b64 s[4:5], s[4:5], 2
	s_cmp_ge_i32 s20, s22
	s_wait_alu 0xfffe
	s_add_nc_u64 s[4:5], s[18:19], s[4:5]
	s_wait_alu 0xfffe
	s_add_nc_u64 s[18:19], s[4:5], s[0:1]
	s_add_nc_u64 s[4:5], s[16:17], s[26:27]
	s_cbranch_scc1 .LBB44_14
; %bb.6:
	v_cmp_gt_i32_e64 s0, s15, v0
	s_cmp_gt_i32 s14, 0
	s_mov_b32 s17, 0
	s_cselect_b32 s23, -1, 0
	s_branch .LBB44_8
.LBB44_7:                               ;   in Loop: Header=BB44_8 Depth=1
	s_add_co_i32 s20, s20, 1
	s_delay_alu instid0(SALU_CYCLE_1)
	s_cmp_ge_i32 s20, s22
	s_cbranch_scc1 .LBB44_14
.LBB44_8:                               ; =>This Loop Header: Depth=1
                                        ;     Child Loop BB44_11 Depth 2
                                        ;       Child Loop BB44_13 Depth 3
	s_and_not1_b32 vcc_lo, exec_lo, s23
	s_wait_alu 0xfffe
	s_cbranch_vccnz .LBB44_7
; %bb.9:                                ;   in Loop: Header=BB44_8 Depth=1
	s_ashr_i32 s21, s20, 31
	s_mul_i32 s28, s20, s14
	s_lshl_b64 s[26:27], s[20:21], 2
	s_ashr_i32 s29, s28, 31
	s_add_nc_u64 s[26:27], s[18:19], s[26:27]
	s_mul_u64 s[28:29], s[10:11], s[28:29]
	s_load_b32 s26, s[26:27], 0x0
	s_lshl_b64 s[28:29], s[28:29], 1
	s_mov_b32 s16, 0
	s_wait_kmcnt 0x0
	s_ashr_i32 s27, s26, 31
	s_delay_alu instid0(SALU_CYCLE_1)
	s_mul_u64 s[30:31], s[6:7], s[26:27]
	s_add_nc_u64 s[26:27], s[4:5], s[28:29]
	s_wait_alu 0xfffe
	s_add_nc_u64 s[28:29], s[24:25], s[30:31]
	s_branch .LBB44_11
.LBB44_10:                              ;   in Loop: Header=BB44_11 Depth=2
	s_or_b32 exec_lo, exec_lo, s21
	s_add_co_i32 s16, s16, 1
	s_delay_alu instid0(SALU_CYCLE_1)
	s_cmp_eq_u32 s16, s14
	s_cbranch_scc1 .LBB44_7
.LBB44_11:                              ;   Parent Loop BB44_8 Depth=1
                                        ; =>  This Loop Header: Depth=2
                                        ;       Child Loop BB44_13 Depth 3
	s_and_saveexec_b32 s21, s0
	s_cbranch_execz .LBB44_10
; %bb.12:                               ;   in Loop: Header=BB44_11 Depth=2
	s_load_b32 s1, s[12:13], 0xc
	s_load_b32 s36, s[2:3], 0x0
	s_mul_u64 s[34:35], s[10:11], s[16:17]
	v_mov_b32_e32 v1, v0
	s_mul_u64 s[30:31], s[8:9], s[16:17]
	s_wait_alu 0xfffe
	s_lshl_b64 s[34:35], s[34:35], 1
	s_add_nc_u64 s[30:31], s[28:29], s[30:31]
	s_wait_alu 0xfffe
	s_add_nc_u64 s[34:35], s[26:27], s[34:35]
	s_mov_b32 s38, 0
	s_wait_kmcnt 0x0
	s_and_b32 s37, s1, 0xffff
.LBB44_13:                              ;   Parent Loop BB44_8 Depth=1
                                        ;     Parent Loop BB44_11 Depth=2
                                        ; =>    This Inner Loop Header: Depth=3
	v_ashrrev_i32_e32 v2, 31, v1
	v_add_co_u32 v3, vcc_lo, s30, v1
	s_wait_alu 0xfffd
	s_delay_alu instid0(VALU_DEP_2) | instskip(SKIP_4) | instid1(VALU_DEP_1)
	v_add_co_ci_u32_e64 v4, null, s31, v2, vcc_lo
	global_load_u8 v4, v[3:4], off
	v_lshlrev_b64_e32 v[2:3], 1, v[1:2]
	s_wait_alu 0xfffe
	v_add_nc_u32_e32 v1, s37, v1
	v_cmp_le_i32_e32 vcc_lo, s15, v1
	s_delay_alu instid0(VALU_DEP_3)
	v_add_co_u32 v2, s1, s34, v2
	s_wait_alu 0xf1ff
	v_add_co_ci_u32_e64 v3, null, s35, v3, s1
	s_or_b32 s38, vcc_lo, s38
	s_wait_loadcnt 0x0
	v_cvt_f32_fp8_e32 v4, v4
	s_delay_alu instid0(VALU_DEP_1)
	v_fma_mixlo_f16 v4, s36, v4, 0
	global_store_b16 v[2:3], v4, off
	s_and_not1_b32 exec_lo, exec_lo, s38
	s_cbranch_execnz .LBB44_13
	s_branch .LBB44_10
.LBB44_14:
	s_cmp_lg_u32 s33, 0
	s_cbranch_scc0 .LBB44_21
; %bb.15:
	s_cmp_lt_i32 s33, 1
	s_cbranch_scc1 .LBB44_21
; %bb.16:
	s_ashr_i32 s23, s22, 31
	s_mov_b32 s17, 0
	s_lshl_b64 s[0:1], s[22:23], 2
	s_mov_b32 s16, s17
	s_wait_alu 0xfffe
	s_add_nc_u64 s[0:1], s[18:19], s[0:1]
	s_mul_i32 s18, s22, s14
	s_load_b32 s0, s[0:1], 0x0
	s_ashr_i32 s19, s18, 31
	v_cmp_gt_i32_e32 vcc_lo, s15, v0
	s_mul_u64 s[18:19], s[10:11], s[18:19]
	s_delay_alu instid0(SALU_CYCLE_1) | instskip(NEXT) | instid1(SALU_CYCLE_1)
	s_lshl_b64 s[18:19], s[18:19], 1
	s_add_nc_u64 s[4:5], s[4:5], s[18:19]
	s_wait_kmcnt 0x0
	s_ashr_i32 s1, s0, 31
	s_wait_alu 0xfffe
	s_mul_u64 s[0:1], s[6:7], s[0:1]
	s_wait_alu 0xfffe
	s_add_nc_u64 s[6:7], s[24:25], s[0:1]
	s_branch .LBB44_18
.LBB44_17:                              ;   in Loop: Header=BB44_18 Depth=1
	s_wait_alu 0xfffe
	s_or_b32 exec_lo, exec_lo, s14
	s_add_co_i32 s16, s16, 1
	s_delay_alu instid0(SALU_CYCLE_1)
	s_cmp_lg_u32 s16, s33
	s_cbranch_scc0 .LBB44_21
.LBB44_18:                              ; =>This Loop Header: Depth=1
                                        ;     Child Loop BB44_20 Depth 2
	s_and_saveexec_b32 s14, vcc_lo
	s_cbranch_execz .LBB44_17
; %bb.19:                               ;   in Loop: Header=BB44_18 Depth=1
	s_load_b32 s23, s[12:13], 0xc
	s_load_b32 s22, s[2:3], 0x0
	s_mul_u64 s[18:19], s[10:11], s[16:17]
	v_mov_b32_e32 v1, v0
	s_mul_u64 s[0:1], s[8:9], s[16:17]
	s_wait_alu 0xfffe
	s_lshl_b64 s[20:21], s[18:19], 1
	s_add_nc_u64 s[18:19], s[6:7], s[0:1]
	s_wait_alu 0xfffe
	s_add_nc_u64 s[20:21], s[4:5], s[20:21]
	s_mov_b32 s24, 0
	s_wait_kmcnt 0x0
	s_and_b32 s23, s23, 0xffff
.LBB44_20:                              ;   Parent Loop BB44_18 Depth=1
                                        ; =>  This Inner Loop Header: Depth=2
	v_ashrrev_i32_e32 v2, 31, v1
	v_add_co_u32 v3, s0, s18, v1
	s_wait_alu 0xf1ff
	s_delay_alu instid0(VALU_DEP_2) | instskip(SKIP_4) | instid1(VALU_DEP_1)
	v_add_co_ci_u32_e64 v4, null, s19, v2, s0
	global_load_u8 v4, v[3:4], off
	v_lshlrev_b64_e32 v[2:3], 1, v[1:2]
	s_wait_alu 0xfffe
	v_add_nc_u32_e32 v1, s23, v1
	v_cmp_le_i32_e64 s0, s15, v1
	s_delay_alu instid0(VALU_DEP_3)
	v_add_co_u32 v2, s1, s20, v2
	s_wait_alu 0xf1ff
	v_add_co_ci_u32_e64 v3, null, s21, v3, s1
	s_or_b32 s24, s0, s24
	s_wait_loadcnt 0x0
	v_cvt_f32_fp8_e32 v4, v4
	s_delay_alu instid0(VALU_DEP_1)
	v_fma_mixlo_f16 v4, s22, v4, 0
	global_store_b16 v[2:3], v4, off
	s_and_not1_b32 exec_lo, exec_lo, s24
	s_cbranch_execnz .LBB44_20
	s_branch .LBB44_17
.LBB44_21:
	s_endpgm
	.section	.rodata,"a",@progbits
	.p2align	6, 0x0
	.amdhsa_kernel _ZN4vllm30gather_and_maybe_dequant_cacheIthLNS_18Fp8KVCacheDataTypeE1EEEvPKT0_PT_PKiS8_iillllPKfS8_
		.amdhsa_group_segment_fixed_size 0
		.amdhsa_private_segment_fixed_size 0
		.amdhsa_kernarg_size 344
		.amdhsa_user_sgpr_count 2
		.amdhsa_user_sgpr_dispatch_ptr 0
		.amdhsa_user_sgpr_queue_ptr 0
		.amdhsa_user_sgpr_kernarg_segment_ptr 1
		.amdhsa_user_sgpr_dispatch_id 0
		.amdhsa_user_sgpr_private_segment_size 0
		.amdhsa_wavefront_size32 1
		.amdhsa_uses_dynamic_stack 0
		.amdhsa_enable_private_segment 0
		.amdhsa_system_sgpr_workgroup_id_x 1
		.amdhsa_system_sgpr_workgroup_id_y 1
		.amdhsa_system_sgpr_workgroup_id_z 0
		.amdhsa_system_sgpr_workgroup_info 0
		.amdhsa_system_vgpr_workitem_id 0
		.amdhsa_next_free_vgpr 5
		.amdhsa_next_free_sgpr 39
		.amdhsa_reserve_vcc 1
		.amdhsa_float_round_mode_32 0
		.amdhsa_float_round_mode_16_64 0
		.amdhsa_float_denorm_mode_32 3
		.amdhsa_float_denorm_mode_16_64 3
		.amdhsa_fp16_overflow 0
		.amdhsa_workgroup_processor_mode 1
		.amdhsa_memory_ordered 1
		.amdhsa_forward_progress 1
		.amdhsa_inst_pref_size 12
		.amdhsa_round_robin_scheduling 0
		.amdhsa_exception_fp_ieee_invalid_op 0
		.amdhsa_exception_fp_denorm_src 0
		.amdhsa_exception_fp_ieee_div_zero 0
		.amdhsa_exception_fp_ieee_overflow 0
		.amdhsa_exception_fp_ieee_underflow 0
		.amdhsa_exception_fp_ieee_inexact 0
		.amdhsa_exception_int_div_zero 0
	.end_amdhsa_kernel
	.section	.text._ZN4vllm30gather_and_maybe_dequant_cacheIthLNS_18Fp8KVCacheDataTypeE1EEEvPKT0_PT_PKiS8_iillllPKfS8_,"axG",@progbits,_ZN4vllm30gather_and_maybe_dequant_cacheIthLNS_18Fp8KVCacheDataTypeE1EEEvPKT0_PT_PKiS8_iillllPKfS8_,comdat
.Lfunc_end44:
	.size	_ZN4vllm30gather_and_maybe_dequant_cacheIthLNS_18Fp8KVCacheDataTypeE1EEEvPKT0_PT_PKiS8_iillllPKfS8_, .Lfunc_end44-_ZN4vllm30gather_and_maybe_dequant_cacheIthLNS_18Fp8KVCacheDataTypeE1EEEvPKT0_PT_PKiS8_iillllPKfS8_
                                        ; -- End function
	.set _ZN4vllm30gather_and_maybe_dequant_cacheIthLNS_18Fp8KVCacheDataTypeE1EEEvPKT0_PT_PKiS8_iillllPKfS8_.num_vgpr, 5
	.set _ZN4vllm30gather_and_maybe_dequant_cacheIthLNS_18Fp8KVCacheDataTypeE1EEEvPKT0_PT_PKiS8_iillllPKfS8_.num_agpr, 0
	.set _ZN4vllm30gather_and_maybe_dequant_cacheIthLNS_18Fp8KVCacheDataTypeE1EEEvPKT0_PT_PKiS8_iillllPKfS8_.numbered_sgpr, 39
	.set _ZN4vllm30gather_and_maybe_dequant_cacheIthLNS_18Fp8KVCacheDataTypeE1EEEvPKT0_PT_PKiS8_iillllPKfS8_.num_named_barrier, 0
	.set _ZN4vllm30gather_and_maybe_dequant_cacheIthLNS_18Fp8KVCacheDataTypeE1EEEvPKT0_PT_PKiS8_iillllPKfS8_.private_seg_size, 0
	.set _ZN4vllm30gather_and_maybe_dequant_cacheIthLNS_18Fp8KVCacheDataTypeE1EEEvPKT0_PT_PKiS8_iillllPKfS8_.uses_vcc, 1
	.set _ZN4vllm30gather_and_maybe_dequant_cacheIthLNS_18Fp8KVCacheDataTypeE1EEEvPKT0_PT_PKiS8_iillllPKfS8_.uses_flat_scratch, 0
	.set _ZN4vllm30gather_and_maybe_dequant_cacheIthLNS_18Fp8KVCacheDataTypeE1EEEvPKT0_PT_PKiS8_iillllPKfS8_.has_dyn_sized_stack, 0
	.set _ZN4vllm30gather_and_maybe_dequant_cacheIthLNS_18Fp8KVCacheDataTypeE1EEEvPKT0_PT_PKiS8_iillllPKfS8_.has_recursion, 0
	.set _ZN4vllm30gather_and_maybe_dequant_cacheIthLNS_18Fp8KVCacheDataTypeE1EEEvPKT0_PT_PKiS8_iillllPKfS8_.has_indirect_call, 0
	.section	.AMDGPU.csdata,"",@progbits
; Kernel info:
; codeLenInByte = 1416
; TotalNumSgprs: 41
; NumVgprs: 5
; ScratchSize: 0
; MemoryBound: 0
; FloatMode: 240
; IeeeMode: 1
; LDSByteSize: 0 bytes/workgroup (compile time only)
; SGPRBlocks: 0
; VGPRBlocks: 0
; NumSGPRsForWavesPerEU: 41
; NumVGPRsForWavesPerEU: 5
; Occupancy: 16
; WaveLimiterHint : 1
; COMPUTE_PGM_RSRC2:SCRATCH_EN: 0
; COMPUTE_PGM_RSRC2:USER_SGPR: 2
; COMPUTE_PGM_RSRC2:TRAP_HANDLER: 0
; COMPUTE_PGM_RSRC2:TGID_X_EN: 1
; COMPUTE_PGM_RSRC2:TGID_Y_EN: 1
; COMPUTE_PGM_RSRC2:TGID_Z_EN: 0
; COMPUTE_PGM_RSRC2:TIDIG_COMP_CNT: 0
	.section	.text._ZN4vllm30gather_and_maybe_dequant_cacheI14__hip_bfloat16hLNS_18Fp8KVCacheDataTypeE1EEEvPKT0_PT_PKiS9_iillllPKfS9_,"axG",@progbits,_ZN4vllm30gather_and_maybe_dequant_cacheI14__hip_bfloat16hLNS_18Fp8KVCacheDataTypeE1EEEvPKT0_PT_PKiS9_iillllPKfS9_,comdat
	.protected	_ZN4vllm30gather_and_maybe_dequant_cacheI14__hip_bfloat16hLNS_18Fp8KVCacheDataTypeE1EEEvPKT0_PT_PKiS9_iillllPKfS9_ ; -- Begin function _ZN4vllm30gather_and_maybe_dequant_cacheI14__hip_bfloat16hLNS_18Fp8KVCacheDataTypeE1EEEvPKT0_PT_PKiS9_iillllPKfS9_
	.globl	_ZN4vllm30gather_and_maybe_dequant_cacheI14__hip_bfloat16hLNS_18Fp8KVCacheDataTypeE1EEEvPKT0_PT_PKiS9_iillllPKfS9_
	.p2align	8
	.type	_ZN4vllm30gather_and_maybe_dequant_cacheI14__hip_bfloat16hLNS_18Fp8KVCacheDataTypeE1EEEvPKT0_PT_PKiS9_iillllPKfS9_,@function
_ZN4vllm30gather_and_maybe_dequant_cacheI14__hip_bfloat16hLNS_18Fp8KVCacheDataTypeE1EEEvPKT0_PT_PKiS9_iillllPKfS9_: ; @_ZN4vllm30gather_and_maybe_dequant_cacheI14__hip_bfloat16hLNS_18Fp8KVCacheDataTypeE1EEEvPKT0_PT_PKiS9_iillllPKfS9_
; %bb.0:
	s_clause 0x1
	s_load_b128 s[12:15], s[0:1], 0x18
	s_load_b32 s16, s[0:1], 0x5c
	s_mov_b32 s5, 0
	s_mov_b32 s26, ttmp9
	s_mov_b32 s27, s5
	s_delay_alu instid0(SALU_CYCLE_1)
	s_lshl_b64 s[2:3], s[26:27], 2
	s_wait_kmcnt 0x0
	s_abs_i32 s8, s14
	s_add_nc_u64 s[6:7], s[12:13], s[2:3]
	s_cvt_f32_u32 s4, s8
	s_load_b64 s[28:29], s[6:7], 0x0
	s_sub_co_i32 s6, 0, s8
	s_ashr_i32 s10, s14, 31
	v_rcp_iflag_f32_e32 v1, s4
	s_delay_alu instid0(TRANS32_DEP_1) | instskip(SKIP_3) | instid1(SALU_CYCLE_1)
	v_readfirstlane_b32 s4, v1
	s_mul_f32 s4, s4, 0x4f7ffffe
	s_wait_kmcnt 0x0
	s_sub_co_i32 s9, s29, s28
	s_add_co_i32 s7, s14, s9
	s_wait_alu 0xfffe
	s_cvt_u32_f32 s4, s4
	s_add_co_i32 s7, s7, -1
	s_delay_alu instid0(SALU_CYCLE_1)
	s_abs_i32 s11, s7
	s_wait_alu 0xfffe
	s_mul_i32 s6, s6, s4
	s_ashr_i32 s7, s7, 31
	s_mul_hi_u32 s6, s4, s6
	s_xor_b32 s7, s7, s10
	s_add_co_i32 s4, s4, s6
	s_wait_alu 0xfffe
	s_mul_hi_u32 s6, s11, s4
	s_delay_alu instid0(SALU_CYCLE_1) | instskip(NEXT) | instid1(SALU_CYCLE_1)
	s_mul_i32 s12, s6, s8
	s_sub_co_i32 s11, s11, s12
	s_add_co_i32 s12, s6, 1
	s_sub_co_i32 s13, s11, s8
	s_cmp_ge_u32 s11, s8
	s_cselect_b32 s6, s12, s6
	s_cselect_b32 s11, s13, s11
	s_add_co_i32 s12, s6, 1
	s_cmp_ge_u32 s11, s8
	s_cselect_b32 s6, s12, s6
	s_abs_i32 s12, s16
	s_xor_b32 s6, s6, s7
	s_cvt_f32_u32 s11, s12
	s_delay_alu instid0(SALU_CYCLE_3) | instskip(NEXT) | instid1(TRANS32_DEP_1)
	v_rcp_iflag_f32_e32 v1, s11
	v_readfirstlane_b32 s11, v1
	s_mul_f32 s11, s11, 0x4f7ffffe
	s_wait_alu 0xfffe
	s_delay_alu instid0(SALU_CYCLE_2)
	s_cvt_u32_f32 s13, s11
	s_sub_co_i32 s11, s6, s7
	s_sub_co_i32 s6, 0, s12
	s_wait_alu 0xfffe
	s_add_co_i32 s7, s16, s11
	s_mul_i32 s6, s6, s13
	s_add_co_i32 s7, s7, -1
	s_mul_hi_u32 s6, s13, s6
	s_abs_i32 s17, s7
	s_add_co_i32 s13, s13, s6
	s_xor_b32 s7, s7, s16
	s_mul_hi_u32 s6, s17, s13
	s_ashr_i32 s7, s7, 31
	s_mul_i32 s13, s6, s12
	s_add_co_i32 s16, s6, 1
	s_sub_co_i32 s13, s17, s13
	s_delay_alu instid0(SALU_CYCLE_1)
	s_sub_co_i32 s17, s13, s12
	s_cmp_ge_u32 s13, s12
	s_cselect_b32 s6, s16, s6
	s_cselect_b32 s13, s17, s13
	s_add_co_i32 s16, s6, 1
	s_cmp_ge_u32 s13, s12
	s_cselect_b32 s6, s16, s6
	s_delay_alu instid0(SALU_CYCLE_1) | instskip(NEXT) | instid1(SALU_CYCLE_1)
	s_xor_b32 s6, s6, s7
	s_sub_co_i32 s12, s6, s7
	s_delay_alu instid0(SALU_CYCLE_1) | instskip(NEXT) | instid1(SALU_CYCLE_1)
	s_mul_i32 s20, s12, ttmp7
	s_cmp_ge_i32 s20, s11
	s_cbranch_scc1 .LBB45_21
; %bb.1:
	s_load_b64 s[6:7], s[0:1], 0x50
	s_mov_b64 s[30:31], 0
	s_wait_kmcnt 0x0
	s_cmp_eq_u64 s[6:7], 0
	s_cbranch_scc1 .LBB45_3
; %bb.2:
	s_add_nc_u64 s[2:3], s[6:7], s[2:3]
	s_load_b32 s13, s[2:3], 0x0
	s_mov_b32 s3, 0
	s_wait_kmcnt 0x0
	s_abs_i32 s2, s13
	s_delay_alu instid0(SALU_CYCLE_1)
	s_mul_u64 s[6:7], s[2:3], s[4:5]
	s_ashr_i32 s3, s13, 31
	s_mul_i32 s6, s7, s8
	s_xor_b32 s3, s3, s10
	s_sub_co_i32 s2, s2, s6
	s_add_co_i32 s6, s7, 1
	s_sub_co_i32 s10, s2, s8
	s_cmp_ge_u32 s2, s8
	s_cselect_b32 s6, s6, s7
	s_wait_alu 0xfffe
	s_cselect_b32 s2, s10, s2
	s_add_co_i32 s7, s6, 1
	s_cmp_ge_u32 s2, s8
	s_cselect_b32 s2, s7, s6
	s_delay_alu instid0(SALU_CYCLE_1) | instskip(NEXT) | instid1(SALU_CYCLE_1)
	s_xor_b32 s2, s2, s3
	s_sub_co_i32 s30, s2, s3
	s_delay_alu instid0(SALU_CYCLE_1)
	s_ashr_i32 s31, s30, 31
.LBB45_3:
	s_clause 0x1
	s_load_b64 s[2:3], s[0:1], 0x48
	s_load_b128 s[16:19], s[0:1], 0x8
	s_add_co_i32 s6, s20, s12
	s_mov_b32 s33, 0
	s_min_i32 s22, s6, s11
	s_cmp_gt_i32 s11, s6
	s_cbranch_scc1 .LBB45_5
; %bb.4:
	s_abs_i32 s6, s9
	s_mov_b32 s7, 0
	s_delay_alu instid0(SALU_CYCLE_1)
	s_mul_u64 s[4:5], s[6:7], s[4:5]
	s_wait_alu 0xfffe
	s_mul_i32 s4, s5, s8
	s_ashr_i32 s5, s9, 31
	s_wait_alu 0xfffe
	s_sub_co_i32 s4, s6, s4
	s_wait_alu 0xfffe
	s_sub_co_i32 s6, s4, s8
	s_cmp_ge_u32 s4, s8
	s_cselect_b32 s4, s6, s4
	s_wait_alu 0xfffe
	s_sub_co_i32 s6, s4, s8
	s_cmp_ge_u32 s4, s8
	s_cselect_b32 s4, s6, s4
	s_wait_alu 0xfffe
	s_xor_b32 s4, s4, s5
	s_wait_alu 0xfffe
	s_sub_co_i32 s33, s4, s5
	s_delay_alu instid0(SALU_CYCLE_1)
	s_cmp_lg_u32 s33, 0
	s_cselect_b32 s4, -1, 0
	s_wait_alu 0xfffe
	s_cmp_lg_u32 s4, 0
	s_sub_co_ci_u32 s22, s22, 0
.LBB45_5:
	s_clause 0x1
	s_load_b256 s[4:11], s[0:1], 0x28
	s_load_b64 s[24:25], s[0:1], 0x0
	s_ashr_i32 s29, s28, 31
	s_add_nc_u64 s[12:13], s[0:1], 0x58
	s_lshl_b64 s[0:1], s[30:31], 2
	s_wait_kmcnt 0x0
	s_mul_i32 s4, s26, s4
	s_mul_u64 s[26:27], s[10:11], s[28:29]
	s_wait_alu 0xfffe
	s_ashr_i32 s5, s4, 31
	s_lshl_b64 s[26:27], s[26:27], 1
	s_wait_alu 0xfffe
	s_lshl_b64 s[4:5], s[4:5], 2
	s_cmp_ge_i32 s20, s22
	s_wait_alu 0xfffe
	s_add_nc_u64 s[4:5], s[18:19], s[4:5]
	s_wait_alu 0xfffe
	s_add_nc_u64 s[18:19], s[4:5], s[0:1]
	s_add_nc_u64 s[4:5], s[16:17], s[26:27]
	s_cbranch_scc1 .LBB45_14
; %bb.6:
	v_cmp_gt_i32_e64 s0, s15, v0
	s_cmp_gt_i32 s14, 0
	s_mov_b32 s17, 0
	s_cselect_b32 s23, -1, 0
	s_branch .LBB45_8
.LBB45_7:                               ;   in Loop: Header=BB45_8 Depth=1
	s_add_co_i32 s20, s20, 1
	s_delay_alu instid0(SALU_CYCLE_1)
	s_cmp_ge_i32 s20, s22
	s_cbranch_scc1 .LBB45_14
.LBB45_8:                               ; =>This Loop Header: Depth=1
                                        ;     Child Loop BB45_11 Depth 2
                                        ;       Child Loop BB45_13 Depth 3
	s_and_not1_b32 vcc_lo, exec_lo, s23
	s_wait_alu 0xfffe
	s_cbranch_vccnz .LBB45_7
; %bb.9:                                ;   in Loop: Header=BB45_8 Depth=1
	s_ashr_i32 s21, s20, 31
	s_mul_i32 s28, s20, s14
	s_lshl_b64 s[26:27], s[20:21], 2
	s_ashr_i32 s29, s28, 31
	s_add_nc_u64 s[26:27], s[18:19], s[26:27]
	s_mul_u64 s[28:29], s[10:11], s[28:29]
	s_load_b32 s26, s[26:27], 0x0
	s_lshl_b64 s[28:29], s[28:29], 1
	s_mov_b32 s16, 0
	s_wait_kmcnt 0x0
	s_ashr_i32 s27, s26, 31
	s_delay_alu instid0(SALU_CYCLE_1)
	s_mul_u64 s[30:31], s[6:7], s[26:27]
	s_add_nc_u64 s[26:27], s[4:5], s[28:29]
	s_wait_alu 0xfffe
	s_add_nc_u64 s[28:29], s[24:25], s[30:31]
	s_branch .LBB45_11
.LBB45_10:                              ;   in Loop: Header=BB45_11 Depth=2
	s_or_b32 exec_lo, exec_lo, s21
	s_add_co_i32 s16, s16, 1
	s_delay_alu instid0(SALU_CYCLE_1)
	s_cmp_eq_u32 s16, s14
	s_cbranch_scc1 .LBB45_7
.LBB45_11:                              ;   Parent Loop BB45_8 Depth=1
                                        ; =>  This Loop Header: Depth=2
                                        ;       Child Loop BB45_13 Depth 3
	s_and_saveexec_b32 s21, s0
	s_cbranch_execz .LBB45_10
; %bb.12:                               ;   in Loop: Header=BB45_11 Depth=2
	s_load_b32 s1, s[12:13], 0xc
	s_load_b32 s36, s[2:3], 0x0
	s_mul_u64 s[34:35], s[10:11], s[16:17]
	v_mov_b32_e32 v1, v0
	s_mul_u64 s[30:31], s[8:9], s[16:17]
	s_wait_alu 0xfffe
	s_lshl_b64 s[34:35], s[34:35], 1
	s_add_nc_u64 s[30:31], s[28:29], s[30:31]
	s_wait_alu 0xfffe
	s_add_nc_u64 s[34:35], s[26:27], s[34:35]
	s_mov_b32 s38, 0
	s_wait_kmcnt 0x0
	s_and_b32 s37, s1, 0xffff
.LBB45_13:                              ;   Parent Loop BB45_8 Depth=1
                                        ;     Parent Loop BB45_11 Depth=2
                                        ; =>    This Inner Loop Header: Depth=3
	v_ashrrev_i32_e32 v2, 31, v1
	v_add_co_u32 v3, vcc_lo, s30, v1
	s_wait_alu 0xfffd
	s_delay_alu instid0(VALU_DEP_2) | instskip(SKIP_3) | instid1(VALU_DEP_1)
	v_add_co_ci_u32_e64 v4, null, s31, v2, vcc_lo
	global_load_u8 v3, v[3:4], off
	s_wait_loadcnt 0x0
	v_cvt_f32_fp8_e32 v3, v3
	v_mul_f32_e32 v4, s36, v3
	v_lshlrev_b64_e32 v[2:3], 1, v[1:2]
	s_wait_alu 0xfffe
	v_add_nc_u32_e32 v1, s37, v1
	s_delay_alu instid0(VALU_DEP_3) | instskip(SKIP_2) | instid1(VALU_DEP_4)
	v_bfe_u32 v5, v4, 16, 1
	v_or_b32_e32 v6, 0x400000, v4
	v_cmp_u_f32_e64 s1, v4, v4
	v_cmp_le_i32_e32 vcc_lo, s15, v1
	s_delay_alu instid0(VALU_DEP_4) | instskip(SKIP_2) | instid1(VALU_DEP_1)
	v_add3_u32 v5, v5, v4, 0x7fff
	s_or_b32 s38, vcc_lo, s38
	s_wait_alu 0xf1ff
	v_cndmask_b32_e64 v4, v5, v6, s1
	v_add_co_u32 v2, s1, s34, v2
	s_wait_alu 0xf1ff
	v_add_co_ci_u32_e64 v3, null, s35, v3, s1
	global_store_d16_hi_b16 v[2:3], v4, off
	s_and_not1_b32 exec_lo, exec_lo, s38
	s_cbranch_execnz .LBB45_13
	s_branch .LBB45_10
.LBB45_14:
	s_cmp_lg_u32 s33, 0
	s_cbranch_scc0 .LBB45_21
; %bb.15:
	s_cmp_lt_i32 s33, 1
	s_cbranch_scc1 .LBB45_21
; %bb.16:
	s_ashr_i32 s23, s22, 31
	s_mov_b32 s17, 0
	s_lshl_b64 s[0:1], s[22:23], 2
	s_mov_b32 s16, s17
	s_wait_alu 0xfffe
	s_add_nc_u64 s[0:1], s[18:19], s[0:1]
	s_mul_i32 s18, s22, s14
	s_load_b32 s0, s[0:1], 0x0
	s_ashr_i32 s19, s18, 31
	v_cmp_gt_i32_e32 vcc_lo, s15, v0
	s_mul_u64 s[18:19], s[10:11], s[18:19]
	s_delay_alu instid0(SALU_CYCLE_1) | instskip(NEXT) | instid1(SALU_CYCLE_1)
	s_lshl_b64 s[18:19], s[18:19], 1
	s_add_nc_u64 s[4:5], s[4:5], s[18:19]
	s_wait_kmcnt 0x0
	s_ashr_i32 s1, s0, 31
	s_wait_alu 0xfffe
	s_mul_u64 s[0:1], s[6:7], s[0:1]
	s_wait_alu 0xfffe
	s_add_nc_u64 s[6:7], s[24:25], s[0:1]
	s_branch .LBB45_18
.LBB45_17:                              ;   in Loop: Header=BB45_18 Depth=1
	s_wait_alu 0xfffe
	s_or_b32 exec_lo, exec_lo, s14
	s_add_co_i32 s16, s16, 1
	s_delay_alu instid0(SALU_CYCLE_1)
	s_cmp_lg_u32 s16, s33
	s_cbranch_scc0 .LBB45_21
.LBB45_18:                              ; =>This Loop Header: Depth=1
                                        ;     Child Loop BB45_20 Depth 2
	s_and_saveexec_b32 s14, vcc_lo
	s_cbranch_execz .LBB45_17
; %bb.19:                               ;   in Loop: Header=BB45_18 Depth=1
	s_load_b32 s23, s[12:13], 0xc
	s_load_b32 s22, s[2:3], 0x0
	s_mul_u64 s[18:19], s[10:11], s[16:17]
	v_mov_b32_e32 v1, v0
	s_mul_u64 s[0:1], s[8:9], s[16:17]
	s_wait_alu 0xfffe
	s_lshl_b64 s[20:21], s[18:19], 1
	s_add_nc_u64 s[18:19], s[6:7], s[0:1]
	s_wait_alu 0xfffe
	s_add_nc_u64 s[20:21], s[4:5], s[20:21]
	s_mov_b32 s24, 0
	s_wait_kmcnt 0x0
	s_and_b32 s23, s23, 0xffff
.LBB45_20:                              ;   Parent Loop BB45_18 Depth=1
                                        ; =>  This Inner Loop Header: Depth=2
	v_ashrrev_i32_e32 v2, 31, v1
	v_add_co_u32 v3, s0, s18, v1
	s_wait_alu 0xf1ff
	s_delay_alu instid0(VALU_DEP_2) | instskip(SKIP_3) | instid1(VALU_DEP_1)
	v_add_co_ci_u32_e64 v4, null, s19, v2, s0
	global_load_u8 v3, v[3:4], off
	s_wait_loadcnt 0x0
	v_cvt_f32_fp8_e32 v3, v3
	v_mul_f32_e32 v4, s22, v3
	v_lshlrev_b64_e32 v[2:3], 1, v[1:2]
	s_wait_alu 0xfffe
	v_add_nc_u32_e32 v1, s23, v1
	s_delay_alu instid0(VALU_DEP_3) | instskip(SKIP_2) | instid1(VALU_DEP_4)
	v_bfe_u32 v5, v4, 16, 1
	v_or_b32_e32 v6, 0x400000, v4
	v_cmp_u_f32_e64 s1, v4, v4
	v_cmp_le_i32_e64 s0, s15, v1
	s_delay_alu instid0(VALU_DEP_4) | instskip(SKIP_1) | instid1(VALU_DEP_1)
	v_add3_u32 v5, v5, v4, 0x7fff
	s_or_b32 s24, s0, s24
	v_cndmask_b32_e64 v4, v5, v6, s1
	v_add_co_u32 v2, s1, s20, v2
	s_wait_alu 0xf1ff
	v_add_co_ci_u32_e64 v3, null, s21, v3, s1
	global_store_d16_hi_b16 v[2:3], v4, off
	s_and_not1_b32 exec_lo, exec_lo, s24
	s_cbranch_execnz .LBB45_20
	s_branch .LBB45_17
.LBB45_21:
	s_endpgm
	.section	.rodata,"a",@progbits
	.p2align	6, 0x0
	.amdhsa_kernel _ZN4vllm30gather_and_maybe_dequant_cacheI14__hip_bfloat16hLNS_18Fp8KVCacheDataTypeE1EEEvPKT0_PT_PKiS9_iillllPKfS9_
		.amdhsa_group_segment_fixed_size 0
		.amdhsa_private_segment_fixed_size 0
		.amdhsa_kernarg_size 344
		.amdhsa_user_sgpr_count 2
		.amdhsa_user_sgpr_dispatch_ptr 0
		.amdhsa_user_sgpr_queue_ptr 0
		.amdhsa_user_sgpr_kernarg_segment_ptr 1
		.amdhsa_user_sgpr_dispatch_id 0
		.amdhsa_user_sgpr_private_segment_size 0
		.amdhsa_wavefront_size32 1
		.amdhsa_uses_dynamic_stack 0
		.amdhsa_enable_private_segment 0
		.amdhsa_system_sgpr_workgroup_id_x 1
		.amdhsa_system_sgpr_workgroup_id_y 1
		.amdhsa_system_sgpr_workgroup_id_z 0
		.amdhsa_system_sgpr_workgroup_info 0
		.amdhsa_system_vgpr_workitem_id 0
		.amdhsa_next_free_vgpr 7
		.amdhsa_next_free_sgpr 39
		.amdhsa_reserve_vcc 1
		.amdhsa_float_round_mode_32 0
		.amdhsa_float_round_mode_16_64 0
		.amdhsa_float_denorm_mode_32 3
		.amdhsa_float_denorm_mode_16_64 3
		.amdhsa_fp16_overflow 0
		.amdhsa_workgroup_processor_mode 1
		.amdhsa_memory_ordered 1
		.amdhsa_forward_progress 1
		.amdhsa_inst_pref_size 12
		.amdhsa_round_robin_scheduling 0
		.amdhsa_exception_fp_ieee_invalid_op 0
		.amdhsa_exception_fp_denorm_src 0
		.amdhsa_exception_fp_ieee_div_zero 0
		.amdhsa_exception_fp_ieee_overflow 0
		.amdhsa_exception_fp_ieee_underflow 0
		.amdhsa_exception_fp_ieee_inexact 0
		.amdhsa_exception_int_div_zero 0
	.end_amdhsa_kernel
	.section	.text._ZN4vllm30gather_and_maybe_dequant_cacheI14__hip_bfloat16hLNS_18Fp8KVCacheDataTypeE1EEEvPKT0_PT_PKiS9_iillllPKfS9_,"axG",@progbits,_ZN4vllm30gather_and_maybe_dequant_cacheI14__hip_bfloat16hLNS_18Fp8KVCacheDataTypeE1EEEvPKT0_PT_PKiS9_iillllPKfS9_,comdat
.Lfunc_end45:
	.size	_ZN4vllm30gather_and_maybe_dequant_cacheI14__hip_bfloat16hLNS_18Fp8KVCacheDataTypeE1EEEvPKT0_PT_PKiS9_iillllPKfS9_, .Lfunc_end45-_ZN4vllm30gather_and_maybe_dequant_cacheI14__hip_bfloat16hLNS_18Fp8KVCacheDataTypeE1EEEvPKT0_PT_PKiS9_iillllPKfS9_
                                        ; -- End function
	.set _ZN4vllm30gather_and_maybe_dequant_cacheI14__hip_bfloat16hLNS_18Fp8KVCacheDataTypeE1EEEvPKT0_PT_PKiS9_iillllPKfS9_.num_vgpr, 7
	.set _ZN4vllm30gather_and_maybe_dequant_cacheI14__hip_bfloat16hLNS_18Fp8KVCacheDataTypeE1EEEvPKT0_PT_PKiS9_iillllPKfS9_.num_agpr, 0
	.set _ZN4vllm30gather_and_maybe_dequant_cacheI14__hip_bfloat16hLNS_18Fp8KVCacheDataTypeE1EEEvPKT0_PT_PKiS9_iillllPKfS9_.numbered_sgpr, 39
	.set _ZN4vllm30gather_and_maybe_dequant_cacheI14__hip_bfloat16hLNS_18Fp8KVCacheDataTypeE1EEEvPKT0_PT_PKiS9_iillllPKfS9_.num_named_barrier, 0
	.set _ZN4vllm30gather_and_maybe_dequant_cacheI14__hip_bfloat16hLNS_18Fp8KVCacheDataTypeE1EEEvPKT0_PT_PKiS9_iillllPKfS9_.private_seg_size, 0
	.set _ZN4vllm30gather_and_maybe_dequant_cacheI14__hip_bfloat16hLNS_18Fp8KVCacheDataTypeE1EEEvPKT0_PT_PKiS9_iillllPKfS9_.uses_vcc, 1
	.set _ZN4vllm30gather_and_maybe_dequant_cacheI14__hip_bfloat16hLNS_18Fp8KVCacheDataTypeE1EEEvPKT0_PT_PKiS9_iillllPKfS9_.uses_flat_scratch, 0
	.set _ZN4vllm30gather_and_maybe_dequant_cacheI14__hip_bfloat16hLNS_18Fp8KVCacheDataTypeE1EEEvPKT0_PT_PKiS9_iillllPKfS9_.has_dyn_sized_stack, 0
	.set _ZN4vllm30gather_and_maybe_dequant_cacheI14__hip_bfloat16hLNS_18Fp8KVCacheDataTypeE1EEEvPKT0_PT_PKiS9_iillllPKfS9_.has_recursion, 0
	.set _ZN4vllm30gather_and_maybe_dequant_cacheI14__hip_bfloat16hLNS_18Fp8KVCacheDataTypeE1EEEvPKT0_PT_PKiS9_iillllPKfS9_.has_indirect_call, 0
	.section	.AMDGPU.csdata,"",@progbits
; Kernel info:
; codeLenInByte = 1500
; TotalNumSgprs: 41
; NumVgprs: 7
; ScratchSize: 0
; MemoryBound: 0
; FloatMode: 240
; IeeeMode: 1
; LDSByteSize: 0 bytes/workgroup (compile time only)
; SGPRBlocks: 0
; VGPRBlocks: 0
; NumSGPRsForWavesPerEU: 41
; NumVGPRsForWavesPerEU: 7
; Occupancy: 16
; WaveLimiterHint : 1
; COMPUTE_PGM_RSRC2:SCRATCH_EN: 0
; COMPUTE_PGM_RSRC2:USER_SGPR: 2
; COMPUTE_PGM_RSRC2:TRAP_HANDLER: 0
; COMPUTE_PGM_RSRC2:TGID_X_EN: 1
; COMPUTE_PGM_RSRC2:TGID_Y_EN: 1
; COMPUTE_PGM_RSRC2:TGID_Z_EN: 0
; COMPUTE_PGM_RSRC2:TIDIG_COMP_CNT: 0
	.section	.text._ZN4vllm15cp_gather_cacheIjEEvPKT_PS1_PKiS6_iillllS6_,"axG",@progbits,_ZN4vllm15cp_gather_cacheIjEEvPKT_PS1_PKiS6_iillllS6_,comdat
	.protected	_ZN4vllm15cp_gather_cacheIjEEvPKT_PS1_PKiS6_iillllS6_ ; -- Begin function _ZN4vllm15cp_gather_cacheIjEEvPKT_PS1_PKiS6_iillllS6_
	.globl	_ZN4vllm15cp_gather_cacheIjEEvPKT_PS1_PKiS6_iillllS6_
	.p2align	8
	.type	_ZN4vllm15cp_gather_cacheIjEEvPKT_PS1_PKiS6_iillllS6_,@function
_ZN4vllm15cp_gather_cacheIjEEvPKT_PS1_PKiS6_iillllS6_: ; @_ZN4vllm15cp_gather_cacheIjEEvPKT_PS1_PKiS6_iillllS6_
; %bb.0:
	s_clause 0x1
	s_load_b32 s6, s[0:1], 0x54
	s_load_b64 s[2:3], s[0:1], 0x18
	s_mov_b32 s12, ttmp9
	s_mov_b32 s13, 0
	s_delay_alu instid0(SALU_CYCLE_1)
	s_lshl_b64 s[4:5], s[12:13], 2
	s_wait_kmcnt 0x0
	s_abs_i32 s7, s6
	s_add_nc_u64 s[2:3], s[2:3], s[4:5]
	s_cvt_f32_u32 s8, s7
	s_load_b64 s[18:19], s[2:3], 0x0
	s_sub_co_i32 s3, 0, s7
	s_delay_alu instid0(SALU_CYCLE_1) | instskip(NEXT) | instid1(TRANS32_DEP_1)
	v_rcp_iflag_f32_e32 v1, s8
	v_readfirstlane_b32 s2, v1
	s_mul_f32 s2, s2, 0x4f7ffffe
	s_wait_kmcnt 0x0
	s_sub_co_i32 s8, s19, s18
	s_delay_alu instid0(SALU_CYCLE_1)
	s_cvt_u32_f32 s2, s2
	s_wait_alu 0xfffe
	s_add_co_i32 s9, s6, s8
	s_wait_alu 0xfffe
	s_add_co_i32 s9, s9, -1
	s_mul_i32 s3, s3, s2
	s_wait_alu 0xfffe
	s_abs_i32 s10, s9
	s_mul_hi_u32 s3, s2, s3
	s_delay_alu instid0(SALU_CYCLE_1)
	s_add_co_i32 s2, s2, s3
	s_xor_b32 s3, s9, s6
	s_mul_hi_u32 s2, s10, s2
	s_ashr_i32 s3, s3, 31
	s_mul_i32 s6, s2, s7
	s_add_co_i32 s9, s2, 1
	s_sub_co_i32 s6, s10, s6
	s_delay_alu instid0(SALU_CYCLE_1)
	s_sub_co_i32 s10, s6, s7
	s_cmp_ge_u32 s6, s7
	s_wait_alu 0xfffe
	s_cselect_b32 s2, s9, s2
	s_cselect_b32 s6, s10, s6
	s_add_co_i32 s9, s2, 1
	s_cmp_ge_u32 s6, s7
	s_wait_alu 0xfffe
	s_cselect_b32 s2, s9, s2
	s_delay_alu instid0(SALU_CYCLE_1) | instskip(NEXT) | instid1(SALU_CYCLE_1)
	s_xor_b32 s2, s2, s3
	s_sub_co_i32 s9, s2, s3
	s_wait_alu 0xfffe
	s_mul_i32 s2, s9, ttmp7
	s_delay_alu instid0(SALU_CYCLE_1)
	s_cmp_ge_i32 s2, s8
	s_cbranch_scc1 .LBB46_9
; %bb.1:
	s_load_b64 s[6:7], s[0:1], 0x48
	s_mov_b32 s3, s2
	s_wait_kmcnt 0x0
	s_cmp_eq_u64 s[6:7], 0
	s_cbranch_scc1 .LBB46_3
; %bb.2:
	s_add_nc_u64 s[4:5], s[6:7], s[4:5]
	s_load_b32 s3, s[4:5], 0x0
	s_wait_kmcnt 0x0
	s_add_co_i32 s3, s3, s2
.LBB46_3:
	s_add_co_i32 s4, s2, s9
	s_delay_alu instid0(SALU_CYCLE_1) | instskip(NEXT) | instid1(SALU_CYCLE_1)
	s_min_i32 s28, s4, s8
	s_cmp_ge_i32 s2, s28
	s_cbranch_scc1 .LBB46_9
; %bb.4:
	s_clause 0x1
	s_load_b64 s[16:17], s[0:1], 0x20
	s_load_b256 s[4:11], s[0:1], 0x28
	s_wait_kmcnt 0x0
	s_abs_i32 s26, s16
	s_mul_i32 s4, s12, s4
	s_cvt_f32_u32 s5, s26
	s_clause 0x1
	s_load_b128 s[12:15], s[0:1], 0x0
	s_load_b64 s[20:21], s[0:1], 0x10
	v_cmp_gt_i32_e32 vcc_lo, s17, v0
	v_rcp_iflag_f32_e32 v1, s5
	s_delay_alu instid0(TRANS32_DEP_1)
	v_readfirstlane_b32 s5, v1
	s_mul_f32 s19, s5, 0x4f7ffffe
	s_ashr_i32 s5, s4, 31
	s_wait_alu 0xfffe
	s_lshl_b64 s[22:23], s[4:5], 2
	s_cvt_u32_f32 s24, s19
	s_sub_co_i32 s4, 0, s26
	s_ashr_i32 s19, s18, 31
	s_wait_alu 0xfffe
	s_mul_i32 s25, s4, s24
	s_mul_u64 s[4:5], s[10:11], s[18:19]
	s_mul_hi_u32 s18, s24, s25
	s_abs_i32 s19, s3
	s_add_co_i32 s18, s24, s18
	s_wait_alu 0xfffe
	s_lshl_b64 s[24:25], s[4:5], 2
	s_mul_hi_u32 s4, s19, s18
	s_xor_b32 s5, s3, s16
	s_wait_alu 0xfffe
	s_mul_i32 s18, s4, s26
	s_ashr_i32 s27, s5, 31
	s_sub_co_i32 s5, s19, s18
	s_add_co_i32 s18, s4, 1
	s_wait_alu 0xfffe
	s_sub_co_i32 s19, s5, s26
	s_cmp_ge_u32 s5, s26
	s_wait_kmcnt 0x0
	s_add_nc_u64 s[14:15], s[14:15], s[24:25]
	s_cselect_b32 s4, s18, s4
	s_cselect_b32 s5, s19, s5
	s_wait_alu 0xfffe
	s_add_co_i32 s18, s4, 1
	s_cmp_ge_u32 s5, s26
	s_cselect_b32 s18, s18, s4
	s_add_nc_u64 s[4:5], s[0:1], 0x50
	s_xor_b32 s0, s18, s27
	s_add_nc_u64 s[18:19], s[20:21], s[22:23]
	s_sub_co_i32 s20, s0, s27
	s_delay_alu instid0(SALU_CYCLE_1) | instskip(NEXT) | instid1(SALU_CYCLE_1)
	s_mul_i32 s0, s20, s16
	s_sub_co_i32 s22, s3, s0
	s_branch .LBB46_6
.LBB46_5:                               ;   in Loop: Header=BB46_6 Depth=1
	s_or_b32 exec_lo, exec_lo, s29
	s_add_co_i32 s0, s22, 1
	s_wait_alu 0xfffe
	s_cmp_eq_u32 s0, s16
	s_cselect_b32 s1, -1, 0
	s_wait_alu 0xfffe
	s_and_b32 s3, s1, exec_lo
	s_cselect_b32 s22, 0, s0
	s_cmp_lg_u32 s1, 0
	s_add_co_ci_u32 s20, s20, 0
	s_add_co_i32 s2, s2, 1
	s_wait_alu 0xfffe
	s_cmp_lt_i32 s2, s28
	s_cbranch_scc0 .LBB46_9
.LBB46_6:                               ; =>This Loop Header: Depth=1
                                        ;     Child Loop BB46_8 Depth 2
	s_and_saveexec_b32 s29, vcc_lo
	s_cbranch_execz .LBB46_5
; %bb.7:                                ;   in Loop: Header=BB46_6 Depth=1
	s_ashr_i32 s21, s20, 31
	s_ashr_i32 s3, s2, 31
	s_lshl_b64 s[0:1], s[20:21], 2
	s_ashr_i32 s23, s22, 31
	s_wait_alu 0xfffe
	s_add_nc_u64 s[0:1], s[18:19], s[0:1]
	s_mul_u64 s[24:25], s[10:11], s[2:3]
	s_load_b32 s0, s[0:1], 0x0
	s_load_b32 s21, s[4:5], 0xc
	s_mul_u64 s[26:27], s[8:9], s[22:23]
	v_mov_b32_e32 v1, v0
	s_lshl_b64 s[24:25], s[24:25], 2
	s_wait_alu 0xfffe
	s_lshl_b64 s[26:27], s[26:27], 2
	s_add_nc_u64 s[24:25], s[14:15], s[24:25]
	s_wait_kmcnt 0x0
	s_ashr_i32 s1, s0, 31
	s_and_b32 s3, s21, 0xffff
	s_wait_alu 0xfffe
	s_mul_u64 s[0:1], s[6:7], s[0:1]
	s_mov_b32 s21, 0
	s_wait_alu 0xfffe
	s_lshl_b64 s[0:1], s[0:1], 2
	s_wait_alu 0xfffe
	s_add_nc_u64 s[0:1], s[12:13], s[0:1]
	s_wait_alu 0xfffe
	s_add_nc_u64 s[26:27], s[0:1], s[26:27]
.LBB46_8:                               ;   Parent Loop BB46_6 Depth=1
                                        ; =>  This Inner Loop Header: Depth=2
	v_ashrrev_i32_e32 v2, 31, v1
	s_delay_alu instid0(VALU_DEP_1) | instskip(SKIP_2) | instid1(VALU_DEP_2)
	v_lshlrev_b64_e32 v[2:3], 2, v[1:2]
	v_add_nc_u32_e32 v1, s3, v1
	s_wait_alu 0xfffe
	v_add_co_u32 v4, s0, s26, v2
	s_wait_alu 0xf1ff
	s_delay_alu instid0(VALU_DEP_3)
	v_add_co_ci_u32_e64 v5, null, s27, v3, s0
	v_cmp_le_i32_e64 s0, s17, v1
	v_add_co_u32 v2, s1, s24, v2
	global_load_b32 v4, v[4:5], off
	s_wait_alu 0xf1ff
	v_add_co_ci_u32_e64 v3, null, s25, v3, s1
	s_or_b32 s21, s0, s21
	s_wait_loadcnt 0x0
	global_store_b32 v[2:3], v4, off
	s_and_not1_b32 exec_lo, exec_lo, s21
	s_cbranch_execnz .LBB46_8
	s_branch .LBB46_5
.LBB46_9:
	s_endpgm
	.section	.rodata,"a",@progbits
	.p2align	6, 0x0
	.amdhsa_kernel _ZN4vllm15cp_gather_cacheIjEEvPKT_PS1_PKiS6_iillllS6_
		.amdhsa_group_segment_fixed_size 0
		.amdhsa_private_segment_fixed_size 0
		.amdhsa_kernarg_size 336
		.amdhsa_user_sgpr_count 2
		.amdhsa_user_sgpr_dispatch_ptr 0
		.amdhsa_user_sgpr_queue_ptr 0
		.amdhsa_user_sgpr_kernarg_segment_ptr 1
		.amdhsa_user_sgpr_dispatch_id 0
		.amdhsa_user_sgpr_private_segment_size 0
		.amdhsa_wavefront_size32 1
		.amdhsa_uses_dynamic_stack 0
		.amdhsa_enable_private_segment 0
		.amdhsa_system_sgpr_workgroup_id_x 1
		.amdhsa_system_sgpr_workgroup_id_y 1
		.amdhsa_system_sgpr_workgroup_id_z 0
		.amdhsa_system_sgpr_workgroup_info 0
		.amdhsa_system_vgpr_workitem_id 0
		.amdhsa_next_free_vgpr 6
		.amdhsa_next_free_sgpr 30
		.amdhsa_reserve_vcc 1
		.amdhsa_float_round_mode_32 0
		.amdhsa_float_round_mode_16_64 0
		.amdhsa_float_denorm_mode_32 3
		.amdhsa_float_denorm_mode_16_64 3
		.amdhsa_fp16_overflow 0
		.amdhsa_workgroup_processor_mode 1
		.amdhsa_memory_ordered 1
		.amdhsa_forward_progress 1
		.amdhsa_inst_pref_size 7
		.amdhsa_round_robin_scheduling 0
		.amdhsa_exception_fp_ieee_invalid_op 0
		.amdhsa_exception_fp_denorm_src 0
		.amdhsa_exception_fp_ieee_div_zero 0
		.amdhsa_exception_fp_ieee_overflow 0
		.amdhsa_exception_fp_ieee_underflow 0
		.amdhsa_exception_fp_ieee_inexact 0
		.amdhsa_exception_int_div_zero 0
	.end_amdhsa_kernel
	.section	.text._ZN4vllm15cp_gather_cacheIjEEvPKT_PS1_PKiS6_iillllS6_,"axG",@progbits,_ZN4vllm15cp_gather_cacheIjEEvPKT_PS1_PKiS6_iillllS6_,comdat
.Lfunc_end46:
	.size	_ZN4vllm15cp_gather_cacheIjEEvPKT_PS1_PKiS6_iillllS6_, .Lfunc_end46-_ZN4vllm15cp_gather_cacheIjEEvPKT_PS1_PKiS6_iillllS6_
                                        ; -- End function
	.set _ZN4vllm15cp_gather_cacheIjEEvPKT_PS1_PKiS6_iillllS6_.num_vgpr, 6
	.set _ZN4vllm15cp_gather_cacheIjEEvPKT_PS1_PKiS6_iillllS6_.num_agpr, 0
	.set _ZN4vllm15cp_gather_cacheIjEEvPKT_PS1_PKiS6_iillllS6_.numbered_sgpr, 30
	.set _ZN4vllm15cp_gather_cacheIjEEvPKT_PS1_PKiS6_iillllS6_.num_named_barrier, 0
	.set _ZN4vllm15cp_gather_cacheIjEEvPKT_PS1_PKiS6_iillllS6_.private_seg_size, 0
	.set _ZN4vllm15cp_gather_cacheIjEEvPKT_PS1_PKiS6_iillllS6_.uses_vcc, 1
	.set _ZN4vllm15cp_gather_cacheIjEEvPKT_PS1_PKiS6_iillllS6_.uses_flat_scratch, 0
	.set _ZN4vllm15cp_gather_cacheIjEEvPKT_PS1_PKiS6_iillllS6_.has_dyn_sized_stack, 0
	.set _ZN4vllm15cp_gather_cacheIjEEvPKT_PS1_PKiS6_iillllS6_.has_recursion, 0
	.set _ZN4vllm15cp_gather_cacheIjEEvPKT_PS1_PKiS6_iillllS6_.has_indirect_call, 0
	.section	.AMDGPU.csdata,"",@progbits
; Kernel info:
; codeLenInByte = 848
; TotalNumSgprs: 32
; NumVgprs: 6
; ScratchSize: 0
; MemoryBound: 0
; FloatMode: 240
; IeeeMode: 1
; LDSByteSize: 0 bytes/workgroup (compile time only)
; SGPRBlocks: 0
; VGPRBlocks: 0
; NumSGPRsForWavesPerEU: 32
; NumVGPRsForWavesPerEU: 6
; Occupancy: 16
; WaveLimiterHint : 1
; COMPUTE_PGM_RSRC2:SCRATCH_EN: 0
; COMPUTE_PGM_RSRC2:USER_SGPR: 2
; COMPUTE_PGM_RSRC2:TRAP_HANDLER: 0
; COMPUTE_PGM_RSRC2:TGID_X_EN: 1
; COMPUTE_PGM_RSRC2:TGID_Y_EN: 1
; COMPUTE_PGM_RSRC2:TGID_Z_EN: 0
; COMPUTE_PGM_RSRC2:TIDIG_COMP_CNT: 0
	.section	.text._ZN4vllm15cp_gather_cacheItEEvPKT_PS1_PKiS6_iillllS6_,"axG",@progbits,_ZN4vllm15cp_gather_cacheItEEvPKT_PS1_PKiS6_iillllS6_,comdat
	.protected	_ZN4vllm15cp_gather_cacheItEEvPKT_PS1_PKiS6_iillllS6_ ; -- Begin function _ZN4vllm15cp_gather_cacheItEEvPKT_PS1_PKiS6_iillllS6_
	.globl	_ZN4vllm15cp_gather_cacheItEEvPKT_PS1_PKiS6_iillllS6_
	.p2align	8
	.type	_ZN4vllm15cp_gather_cacheItEEvPKT_PS1_PKiS6_iillllS6_,@function
_ZN4vllm15cp_gather_cacheItEEvPKT_PS1_PKiS6_iillllS6_: ; @_ZN4vllm15cp_gather_cacheItEEvPKT_PS1_PKiS6_iillllS6_
; %bb.0:
	s_clause 0x1
	s_load_b32 s6, s[0:1], 0x54
	s_load_b64 s[2:3], s[0:1], 0x18
	s_mov_b32 s12, ttmp9
	s_mov_b32 s13, 0
	s_delay_alu instid0(SALU_CYCLE_1)
	s_lshl_b64 s[4:5], s[12:13], 2
	s_wait_kmcnt 0x0
	s_abs_i32 s7, s6
	s_add_nc_u64 s[2:3], s[2:3], s[4:5]
	s_cvt_f32_u32 s8, s7
	s_load_b64 s[18:19], s[2:3], 0x0
	s_sub_co_i32 s3, 0, s7
	s_delay_alu instid0(SALU_CYCLE_1) | instskip(NEXT) | instid1(TRANS32_DEP_1)
	v_rcp_iflag_f32_e32 v1, s8
	v_readfirstlane_b32 s2, v1
	s_mul_f32 s2, s2, 0x4f7ffffe
	s_wait_kmcnt 0x0
	s_sub_co_i32 s8, s19, s18
	s_delay_alu instid0(SALU_CYCLE_1)
	s_cvt_u32_f32 s2, s2
	s_wait_alu 0xfffe
	s_add_co_i32 s9, s6, s8
	s_wait_alu 0xfffe
	s_add_co_i32 s9, s9, -1
	s_mul_i32 s3, s3, s2
	s_wait_alu 0xfffe
	s_abs_i32 s10, s9
	s_mul_hi_u32 s3, s2, s3
	s_delay_alu instid0(SALU_CYCLE_1)
	s_add_co_i32 s2, s2, s3
	s_xor_b32 s3, s9, s6
	s_mul_hi_u32 s2, s10, s2
	s_ashr_i32 s3, s3, 31
	s_mul_i32 s6, s2, s7
	s_add_co_i32 s9, s2, 1
	s_sub_co_i32 s6, s10, s6
	s_delay_alu instid0(SALU_CYCLE_1)
	s_sub_co_i32 s10, s6, s7
	s_cmp_ge_u32 s6, s7
	s_wait_alu 0xfffe
	s_cselect_b32 s2, s9, s2
	s_cselect_b32 s6, s10, s6
	s_add_co_i32 s9, s2, 1
	s_cmp_ge_u32 s6, s7
	s_wait_alu 0xfffe
	s_cselect_b32 s2, s9, s2
	s_delay_alu instid0(SALU_CYCLE_1) | instskip(NEXT) | instid1(SALU_CYCLE_1)
	s_xor_b32 s2, s2, s3
	s_sub_co_i32 s9, s2, s3
	s_wait_alu 0xfffe
	s_mul_i32 s2, s9, ttmp7
	s_delay_alu instid0(SALU_CYCLE_1)
	s_cmp_ge_i32 s2, s8
	s_cbranch_scc1 .LBB47_9
; %bb.1:
	s_load_b64 s[6:7], s[0:1], 0x48
	s_mov_b32 s3, s2
	s_wait_kmcnt 0x0
	s_cmp_eq_u64 s[6:7], 0
	s_cbranch_scc1 .LBB47_3
; %bb.2:
	s_add_nc_u64 s[4:5], s[6:7], s[4:5]
	s_load_b32 s3, s[4:5], 0x0
	s_wait_kmcnt 0x0
	s_add_co_i32 s3, s3, s2
.LBB47_3:
	s_add_co_i32 s4, s2, s9
	s_delay_alu instid0(SALU_CYCLE_1) | instskip(NEXT) | instid1(SALU_CYCLE_1)
	s_min_i32 s28, s4, s8
	s_cmp_ge_i32 s2, s28
	s_cbranch_scc1 .LBB47_9
; %bb.4:
	s_clause 0x1
	s_load_b64 s[16:17], s[0:1], 0x20
	s_load_b256 s[4:11], s[0:1], 0x28
	s_wait_kmcnt 0x0
	s_abs_i32 s26, s16
	s_mul_i32 s4, s12, s4
	s_cvt_f32_u32 s5, s26
	s_clause 0x1
	s_load_b128 s[12:15], s[0:1], 0x0
	s_load_b64 s[20:21], s[0:1], 0x10
	v_cmp_gt_i32_e32 vcc_lo, s17, v0
	v_rcp_iflag_f32_e32 v1, s5
	s_delay_alu instid0(TRANS32_DEP_1)
	v_readfirstlane_b32 s5, v1
	s_mul_f32 s19, s5, 0x4f7ffffe
	s_ashr_i32 s5, s4, 31
	s_wait_alu 0xfffe
	s_lshl_b64 s[22:23], s[4:5], 2
	s_cvt_u32_f32 s24, s19
	s_sub_co_i32 s4, 0, s26
	s_ashr_i32 s19, s18, 31
	s_wait_alu 0xfffe
	s_mul_i32 s25, s4, s24
	s_mul_u64 s[4:5], s[10:11], s[18:19]
	s_mul_hi_u32 s18, s24, s25
	s_abs_i32 s19, s3
	s_add_co_i32 s18, s24, s18
	s_wait_alu 0xfffe
	s_lshl_b64 s[24:25], s[4:5], 1
	s_mul_hi_u32 s4, s19, s18
	s_xor_b32 s5, s3, s16
	s_wait_alu 0xfffe
	s_mul_i32 s18, s4, s26
	s_ashr_i32 s27, s5, 31
	s_sub_co_i32 s5, s19, s18
	s_add_co_i32 s18, s4, 1
	s_wait_alu 0xfffe
	s_sub_co_i32 s19, s5, s26
	s_cmp_ge_u32 s5, s26
	s_wait_kmcnt 0x0
	s_add_nc_u64 s[14:15], s[14:15], s[24:25]
	s_cselect_b32 s4, s18, s4
	s_cselect_b32 s5, s19, s5
	s_wait_alu 0xfffe
	s_add_co_i32 s18, s4, 1
	s_cmp_ge_u32 s5, s26
	s_cselect_b32 s18, s18, s4
	s_add_nc_u64 s[4:5], s[0:1], 0x50
	s_xor_b32 s0, s18, s27
	s_add_nc_u64 s[18:19], s[20:21], s[22:23]
	s_sub_co_i32 s20, s0, s27
	s_delay_alu instid0(SALU_CYCLE_1) | instskip(NEXT) | instid1(SALU_CYCLE_1)
	s_mul_i32 s0, s20, s16
	s_sub_co_i32 s22, s3, s0
	s_branch .LBB47_6
.LBB47_5:                               ;   in Loop: Header=BB47_6 Depth=1
	s_or_b32 exec_lo, exec_lo, s29
	s_add_co_i32 s0, s22, 1
	s_wait_alu 0xfffe
	s_cmp_eq_u32 s0, s16
	s_cselect_b32 s1, -1, 0
	s_wait_alu 0xfffe
	s_and_b32 s3, s1, exec_lo
	s_cselect_b32 s22, 0, s0
	s_cmp_lg_u32 s1, 0
	s_add_co_ci_u32 s20, s20, 0
	s_add_co_i32 s2, s2, 1
	s_wait_alu 0xfffe
	s_cmp_lt_i32 s2, s28
	s_cbranch_scc0 .LBB47_9
.LBB47_6:                               ; =>This Loop Header: Depth=1
                                        ;     Child Loop BB47_8 Depth 2
	s_and_saveexec_b32 s29, vcc_lo
	s_cbranch_execz .LBB47_5
; %bb.7:                                ;   in Loop: Header=BB47_6 Depth=1
	s_ashr_i32 s21, s20, 31
	s_ashr_i32 s3, s2, 31
	s_lshl_b64 s[0:1], s[20:21], 2
	s_ashr_i32 s23, s22, 31
	s_wait_alu 0xfffe
	s_add_nc_u64 s[0:1], s[18:19], s[0:1]
	s_mul_u64 s[24:25], s[10:11], s[2:3]
	s_load_b32 s0, s[0:1], 0x0
	s_load_b32 s21, s[4:5], 0xc
	s_mul_u64 s[26:27], s[8:9], s[22:23]
	v_mov_b32_e32 v1, v0
	s_lshl_b64 s[24:25], s[24:25], 1
	s_wait_alu 0xfffe
	s_lshl_b64 s[26:27], s[26:27], 1
	s_add_nc_u64 s[24:25], s[14:15], s[24:25]
	s_wait_kmcnt 0x0
	s_ashr_i32 s1, s0, 31
	s_and_b32 s3, s21, 0xffff
	s_wait_alu 0xfffe
	s_mul_u64 s[0:1], s[6:7], s[0:1]
	s_mov_b32 s21, 0
	s_wait_alu 0xfffe
	s_lshl_b64 s[0:1], s[0:1], 1
	s_wait_alu 0xfffe
	s_add_nc_u64 s[0:1], s[12:13], s[0:1]
	s_wait_alu 0xfffe
	s_add_nc_u64 s[26:27], s[0:1], s[26:27]
.LBB47_8:                               ;   Parent Loop BB47_6 Depth=1
                                        ; =>  This Inner Loop Header: Depth=2
	v_ashrrev_i32_e32 v2, 31, v1
	s_delay_alu instid0(VALU_DEP_1) | instskip(SKIP_2) | instid1(VALU_DEP_2)
	v_lshlrev_b64_e32 v[2:3], 1, v[1:2]
	v_add_nc_u32_e32 v1, s3, v1
	s_wait_alu 0xfffe
	v_add_co_u32 v4, s0, s26, v2
	s_wait_alu 0xf1ff
	s_delay_alu instid0(VALU_DEP_3)
	v_add_co_ci_u32_e64 v5, null, s27, v3, s0
	v_cmp_le_i32_e64 s0, s17, v1
	v_add_co_u32 v2, s1, s24, v2
	global_load_u16 v4, v[4:5], off
	s_wait_alu 0xf1ff
	v_add_co_ci_u32_e64 v3, null, s25, v3, s1
	s_or_b32 s21, s0, s21
	s_wait_loadcnt 0x0
	global_store_b16 v[2:3], v4, off
	s_and_not1_b32 exec_lo, exec_lo, s21
	s_cbranch_execnz .LBB47_8
	s_branch .LBB47_5
.LBB47_9:
	s_endpgm
	.section	.rodata,"a",@progbits
	.p2align	6, 0x0
	.amdhsa_kernel _ZN4vllm15cp_gather_cacheItEEvPKT_PS1_PKiS6_iillllS6_
		.amdhsa_group_segment_fixed_size 0
		.amdhsa_private_segment_fixed_size 0
		.amdhsa_kernarg_size 336
		.amdhsa_user_sgpr_count 2
		.amdhsa_user_sgpr_dispatch_ptr 0
		.amdhsa_user_sgpr_queue_ptr 0
		.amdhsa_user_sgpr_kernarg_segment_ptr 1
		.amdhsa_user_sgpr_dispatch_id 0
		.amdhsa_user_sgpr_private_segment_size 0
		.amdhsa_wavefront_size32 1
		.amdhsa_uses_dynamic_stack 0
		.amdhsa_enable_private_segment 0
		.amdhsa_system_sgpr_workgroup_id_x 1
		.amdhsa_system_sgpr_workgroup_id_y 1
		.amdhsa_system_sgpr_workgroup_id_z 0
		.amdhsa_system_sgpr_workgroup_info 0
		.amdhsa_system_vgpr_workitem_id 0
		.amdhsa_next_free_vgpr 6
		.amdhsa_next_free_sgpr 30
		.amdhsa_reserve_vcc 1
		.amdhsa_float_round_mode_32 0
		.amdhsa_float_round_mode_16_64 0
		.amdhsa_float_denorm_mode_32 3
		.amdhsa_float_denorm_mode_16_64 3
		.amdhsa_fp16_overflow 0
		.amdhsa_workgroup_processor_mode 1
		.amdhsa_memory_ordered 1
		.amdhsa_forward_progress 1
		.amdhsa_inst_pref_size 7
		.amdhsa_round_robin_scheduling 0
		.amdhsa_exception_fp_ieee_invalid_op 0
		.amdhsa_exception_fp_denorm_src 0
		.amdhsa_exception_fp_ieee_div_zero 0
		.amdhsa_exception_fp_ieee_overflow 0
		.amdhsa_exception_fp_ieee_underflow 0
		.amdhsa_exception_fp_ieee_inexact 0
		.amdhsa_exception_int_div_zero 0
	.end_amdhsa_kernel
	.section	.text._ZN4vllm15cp_gather_cacheItEEvPKT_PS1_PKiS6_iillllS6_,"axG",@progbits,_ZN4vllm15cp_gather_cacheItEEvPKT_PS1_PKiS6_iillllS6_,comdat
.Lfunc_end47:
	.size	_ZN4vllm15cp_gather_cacheItEEvPKT_PS1_PKiS6_iillllS6_, .Lfunc_end47-_ZN4vllm15cp_gather_cacheItEEvPKT_PS1_PKiS6_iillllS6_
                                        ; -- End function
	.set _ZN4vllm15cp_gather_cacheItEEvPKT_PS1_PKiS6_iillllS6_.num_vgpr, 6
	.set _ZN4vllm15cp_gather_cacheItEEvPKT_PS1_PKiS6_iillllS6_.num_agpr, 0
	.set _ZN4vllm15cp_gather_cacheItEEvPKT_PS1_PKiS6_iillllS6_.numbered_sgpr, 30
	.set _ZN4vllm15cp_gather_cacheItEEvPKT_PS1_PKiS6_iillllS6_.num_named_barrier, 0
	.set _ZN4vllm15cp_gather_cacheItEEvPKT_PS1_PKiS6_iillllS6_.private_seg_size, 0
	.set _ZN4vllm15cp_gather_cacheItEEvPKT_PS1_PKiS6_iillllS6_.uses_vcc, 1
	.set _ZN4vllm15cp_gather_cacheItEEvPKT_PS1_PKiS6_iillllS6_.uses_flat_scratch, 0
	.set _ZN4vllm15cp_gather_cacheItEEvPKT_PS1_PKiS6_iillllS6_.has_dyn_sized_stack, 0
	.set _ZN4vllm15cp_gather_cacheItEEvPKT_PS1_PKiS6_iillllS6_.has_recursion, 0
	.set _ZN4vllm15cp_gather_cacheItEEvPKT_PS1_PKiS6_iillllS6_.has_indirect_call, 0
	.section	.AMDGPU.csdata,"",@progbits
; Kernel info:
; codeLenInByte = 848
; TotalNumSgprs: 32
; NumVgprs: 6
; ScratchSize: 0
; MemoryBound: 0
; FloatMode: 240
; IeeeMode: 1
; LDSByteSize: 0 bytes/workgroup (compile time only)
; SGPRBlocks: 0
; VGPRBlocks: 0
; NumSGPRsForWavesPerEU: 32
; NumVGPRsForWavesPerEU: 6
; Occupancy: 16
; WaveLimiterHint : 1
; COMPUTE_PGM_RSRC2:SCRATCH_EN: 0
; COMPUTE_PGM_RSRC2:USER_SGPR: 2
; COMPUTE_PGM_RSRC2:TRAP_HANDLER: 0
; COMPUTE_PGM_RSRC2:TGID_X_EN: 1
; COMPUTE_PGM_RSRC2:TGID_Y_EN: 1
; COMPUTE_PGM_RSRC2:TGID_Z_EN: 0
; COMPUTE_PGM_RSRC2:TIDIG_COMP_CNT: 0
	.section	.text._ZN4vllm15cp_gather_cacheIhEEvPKT_PS1_PKiS6_iillllS6_,"axG",@progbits,_ZN4vllm15cp_gather_cacheIhEEvPKT_PS1_PKiS6_iillllS6_,comdat
	.protected	_ZN4vllm15cp_gather_cacheIhEEvPKT_PS1_PKiS6_iillllS6_ ; -- Begin function _ZN4vllm15cp_gather_cacheIhEEvPKT_PS1_PKiS6_iillllS6_
	.globl	_ZN4vllm15cp_gather_cacheIhEEvPKT_PS1_PKiS6_iillllS6_
	.p2align	8
	.type	_ZN4vllm15cp_gather_cacheIhEEvPKT_PS1_PKiS6_iillllS6_,@function
_ZN4vllm15cp_gather_cacheIhEEvPKT_PS1_PKiS6_iillllS6_: ; @_ZN4vllm15cp_gather_cacheIhEEvPKT_PS1_PKiS6_iillllS6_
; %bb.0:
	s_clause 0x1
	s_load_b32 s6, s[0:1], 0x54
	s_load_b64 s[2:3], s[0:1], 0x18
	s_mov_b32 s20, ttmp9
	s_mov_b32 s21, 0
	s_delay_alu instid0(SALU_CYCLE_1)
	s_lshl_b64 s[4:5], s[20:21], 2
	s_wait_kmcnt 0x0
	s_abs_i32 s7, s6
	s_add_nc_u64 s[2:3], s[2:3], s[4:5]
	s_cvt_f32_u32 s8, s7
	s_load_b64 s[18:19], s[2:3], 0x0
	s_sub_co_i32 s3, 0, s7
	s_delay_alu instid0(SALU_CYCLE_1) | instskip(NEXT) | instid1(TRANS32_DEP_1)
	v_rcp_iflag_f32_e32 v1, s8
	v_readfirstlane_b32 s2, v1
	s_mul_f32 s2, s2, 0x4f7ffffe
	s_wait_kmcnt 0x0
	s_sub_co_i32 s8, s19, s18
	s_delay_alu instid0(SALU_CYCLE_1)
	s_cvt_u32_f32 s2, s2
	s_wait_alu 0xfffe
	s_add_co_i32 s9, s6, s8
	s_wait_alu 0xfffe
	s_add_co_i32 s9, s9, -1
	s_mul_i32 s3, s3, s2
	s_wait_alu 0xfffe
	s_abs_i32 s10, s9
	s_mul_hi_u32 s3, s2, s3
	s_delay_alu instid0(SALU_CYCLE_1)
	s_add_co_i32 s2, s2, s3
	s_xor_b32 s3, s9, s6
	s_mul_hi_u32 s2, s10, s2
	s_ashr_i32 s3, s3, 31
	s_mul_i32 s6, s2, s7
	s_add_co_i32 s9, s2, 1
	s_sub_co_i32 s6, s10, s6
	s_delay_alu instid0(SALU_CYCLE_1)
	s_sub_co_i32 s10, s6, s7
	s_cmp_ge_u32 s6, s7
	s_wait_alu 0xfffe
	s_cselect_b32 s2, s9, s2
	s_cselect_b32 s6, s10, s6
	s_add_co_i32 s9, s2, 1
	s_cmp_ge_u32 s6, s7
	s_wait_alu 0xfffe
	s_cselect_b32 s2, s9, s2
	s_delay_alu instid0(SALU_CYCLE_1) | instskip(NEXT) | instid1(SALU_CYCLE_1)
	s_xor_b32 s2, s2, s3
	s_sub_co_i32 s9, s2, s3
	s_wait_alu 0xfffe
	s_mul_i32 s2, s9, ttmp7
	s_delay_alu instid0(SALU_CYCLE_1)
	s_cmp_ge_i32 s2, s8
	s_cbranch_scc1 .LBB48_9
; %bb.1:
	s_load_b64 s[6:7], s[0:1], 0x48
	s_mov_b32 s3, s2
	s_wait_kmcnt 0x0
	s_cmp_eq_u64 s[6:7], 0
	s_cbranch_scc1 .LBB48_3
; %bb.2:
	s_add_nc_u64 s[4:5], s[6:7], s[4:5]
	s_load_b32 s3, s[4:5], 0x0
	s_wait_kmcnt 0x0
	s_add_co_i32 s3, s3, s2
.LBB48_3:
	s_add_co_i32 s4, s2, s9
	s_delay_alu instid0(SALU_CYCLE_1) | instskip(NEXT) | instid1(SALU_CYCLE_1)
	s_min_i32 s28, s4, s8
	s_cmp_ge_i32 s2, s28
	s_cbranch_scc1 .LBB48_9
; %bb.4:
	s_clause 0x1
	s_load_b64 s[16:17], s[0:1], 0x20
	s_load_b256 s[4:11], s[0:1], 0x28
	s_wait_kmcnt 0x0
	s_abs_i32 s24, s16
	s_mul_i32 s4, s20, s4
	s_cvt_f32_u32 s12, s24
	s_sub_co_i32 s20, 0, s24
	v_cmp_gt_i32_e32 vcc_lo, s17, v0
	s_delay_alu instid0(SALU_CYCLE_1) | instskip(SKIP_3) | instid1(TRANS32_DEP_1)
	v_rcp_iflag_f32_e32 v1, s12
	s_clause 0x1
	s_load_b128 s[12:15], s[0:1], 0x0
	s_load_b64 s[22:23], s[0:1], 0x10
	v_readfirstlane_b32 s5, v1
	s_mul_f32 s5, s5, 0x4f7ffffe
	s_delay_alu instid0(SALU_CYCLE_3) | instskip(SKIP_1) | instid1(SALU_CYCLE_2)
	s_cvt_u32_f32 s19, s5
	s_ashr_i32 s5, s4, 31
	s_mul_i32 s25, s20, s19
	s_lshl_b64 s[20:21], s[4:5], 2
	s_mul_hi_u32 s4, s19, s25
	s_abs_i32 s5, s3
	s_add_co_i32 s4, s19, s4
	s_xor_b32 s25, s3, s16
	s_mul_hi_u32 s4, s5, s4
	s_ashr_i32 s19, s18, 31
	s_mul_i32 s26, s4, s24
	s_ashr_i32 s25, s25, 31
	s_sub_co_i32 s5, s5, s26
	s_add_co_i32 s26, s4, 1
	s_sub_co_i32 s27, s5, s24
	s_cmp_ge_u32 s5, s24
	s_wait_kmcnt 0x0
	s_add_nc_u64 s[20:21], s[22:23], s[20:21]
	s_cselect_b32 s26, s26, s4
	s_cselect_b32 s4, s27, s5
	s_add_co_i32 s27, s26, 1
	s_cmp_ge_u32 s4, s24
	s_add_nc_u64 s[4:5], s[0:1], 0x50
	s_cselect_b32 s0, s27, s26
	s_delay_alu instid0(SALU_CYCLE_1) | instskip(SKIP_4) | instid1(SALU_CYCLE_1)
	s_xor_b32 s22, s0, s25
	s_mul_u64 s[0:1], s[10:11], s[18:19]
	s_sub_co_i32 s18, s22, s25
	s_add_nc_u64 s[14:15], s[14:15], s[0:1]
	s_mul_i32 s19, s18, s16
	s_sub_co_i32 s22, s3, s19
	s_branch .LBB48_6
.LBB48_5:                               ;   in Loop: Header=BB48_6 Depth=1
	s_or_b32 exec_lo, exec_lo, s29
	s_add_co_i32 s0, s22, 1
	s_wait_alu 0xfffe
	s_cmp_eq_u32 s0, s16
	s_cselect_b32 s1, -1, 0
	s_wait_alu 0xfffe
	s_and_b32 s3, s1, exec_lo
	s_cselect_b32 s22, 0, s0
	s_cmp_lg_u32 s1, 0
	s_add_co_ci_u32 s18, s18, 0
	s_add_co_i32 s2, s2, 1
	s_wait_alu 0xfffe
	s_cmp_lt_i32 s2, s28
	s_cbranch_scc0 .LBB48_9
.LBB48_6:                               ; =>This Loop Header: Depth=1
                                        ;     Child Loop BB48_8 Depth 2
	s_and_saveexec_b32 s29, vcc_lo
	s_cbranch_execz .LBB48_5
; %bb.7:                                ;   in Loop: Header=BB48_6 Depth=1
	s_ashr_i32 s19, s18, 31
	s_ashr_i32 s3, s2, 31
	s_lshl_b64 s[0:1], s[18:19], 2
	s_ashr_i32 s23, s22, 31
	s_wait_alu 0xfffe
	s_add_nc_u64 s[0:1], s[20:21], s[0:1]
	v_mov_b32_e32 v1, v0
	s_load_b32 s0, s[0:1], 0x0
	s_load_b32 s19, s[4:5], 0xc
	s_mul_u64 s[24:25], s[10:11], s[2:3]
	s_mul_u64 s[26:27], s[8:9], s[22:23]
	s_wait_alu 0xfffe
	s_add_nc_u64 s[24:25], s[14:15], s[24:25]
	s_wait_kmcnt 0x0
	s_ashr_i32 s1, s0, 31
	s_and_b32 s3, s19, 0xffff
	s_wait_alu 0xfffe
	s_mul_u64 s[0:1], s[6:7], s[0:1]
	s_mov_b32 s19, 0
	s_wait_alu 0xfffe
	s_add_nc_u64 s[0:1], s[12:13], s[0:1]
	s_wait_alu 0xfffe
	s_add_nc_u64 s[26:27], s[0:1], s[26:27]
.LBB48_8:                               ;   Parent Loop BB48_6 Depth=1
                                        ; =>  This Inner Loop Header: Depth=2
	v_ashrrev_i32_e32 v4, 31, v1
	s_wait_alu 0xfffe
	v_add_co_u32 v2, s0, s26, v1
	s_wait_alu 0xf1ff
	s_delay_alu instid0(VALU_DEP_2)
	v_add_co_ci_u32_e64 v3, null, s27, v4, s0
	global_load_u8 v5, v[2:3], off
	v_add_co_u32 v2, s0, s24, v1
	v_add_nc_u32_e32 v1, s3, v1
	s_wait_alu 0xf1ff
	v_add_co_ci_u32_e64 v3, null, s25, v4, s0
	s_delay_alu instid0(VALU_DEP_2)
	v_cmp_le_i32_e64 s1, s17, v1
	s_or_b32 s19, s1, s19
	s_wait_loadcnt 0x0
	global_store_b8 v[2:3], v5, off
	s_and_not1_b32 exec_lo, exec_lo, s19
	s_cbranch_execnz .LBB48_8
	s_branch .LBB48_5
.LBB48_9:
	s_endpgm
	.section	.rodata,"a",@progbits
	.p2align	6, 0x0
	.amdhsa_kernel _ZN4vllm15cp_gather_cacheIhEEvPKT_PS1_PKiS6_iillllS6_
		.amdhsa_group_segment_fixed_size 0
		.amdhsa_private_segment_fixed_size 0
		.amdhsa_kernarg_size 336
		.amdhsa_user_sgpr_count 2
		.amdhsa_user_sgpr_dispatch_ptr 0
		.amdhsa_user_sgpr_queue_ptr 0
		.amdhsa_user_sgpr_kernarg_segment_ptr 1
		.amdhsa_user_sgpr_dispatch_id 0
		.amdhsa_user_sgpr_private_segment_size 0
		.amdhsa_wavefront_size32 1
		.amdhsa_uses_dynamic_stack 0
		.amdhsa_enable_private_segment 0
		.amdhsa_system_sgpr_workgroup_id_x 1
		.amdhsa_system_sgpr_workgroup_id_y 1
		.amdhsa_system_sgpr_workgroup_id_z 0
		.amdhsa_system_sgpr_workgroup_info 0
		.amdhsa_system_vgpr_workitem_id 0
		.amdhsa_next_free_vgpr 6
		.amdhsa_next_free_sgpr 30
		.amdhsa_reserve_vcc 1
		.amdhsa_float_round_mode_32 0
		.amdhsa_float_round_mode_16_64 0
		.amdhsa_float_denorm_mode_32 3
		.amdhsa_float_denorm_mode_16_64 3
		.amdhsa_fp16_overflow 0
		.amdhsa_workgroup_processor_mode 1
		.amdhsa_memory_ordered 1
		.amdhsa_forward_progress 1
		.amdhsa_inst_pref_size 7
		.amdhsa_round_robin_scheduling 0
		.amdhsa_exception_fp_ieee_invalid_op 0
		.amdhsa_exception_fp_denorm_src 0
		.amdhsa_exception_fp_ieee_div_zero 0
		.amdhsa_exception_fp_ieee_overflow 0
		.amdhsa_exception_fp_ieee_underflow 0
		.amdhsa_exception_fp_ieee_inexact 0
		.amdhsa_exception_int_div_zero 0
	.end_amdhsa_kernel
	.section	.text._ZN4vllm15cp_gather_cacheIhEEvPKT_PS1_PKiS6_iillllS6_,"axG",@progbits,_ZN4vllm15cp_gather_cacheIhEEvPKT_PS1_PKiS6_iillllS6_,comdat
.Lfunc_end48:
	.size	_ZN4vllm15cp_gather_cacheIhEEvPKT_PS1_PKiS6_iillllS6_, .Lfunc_end48-_ZN4vllm15cp_gather_cacheIhEEvPKT_PS1_PKiS6_iillllS6_
                                        ; -- End function
	.set _ZN4vllm15cp_gather_cacheIhEEvPKT_PS1_PKiS6_iillllS6_.num_vgpr, 6
	.set _ZN4vllm15cp_gather_cacheIhEEvPKT_PS1_PKiS6_iillllS6_.num_agpr, 0
	.set _ZN4vllm15cp_gather_cacheIhEEvPKT_PS1_PKiS6_iillllS6_.numbered_sgpr, 30
	.set _ZN4vllm15cp_gather_cacheIhEEvPKT_PS1_PKiS6_iillllS6_.num_named_barrier, 0
	.set _ZN4vllm15cp_gather_cacheIhEEvPKT_PS1_PKiS6_iillllS6_.private_seg_size, 0
	.set _ZN4vllm15cp_gather_cacheIhEEvPKT_PS1_PKiS6_iillllS6_.uses_vcc, 1
	.set _ZN4vllm15cp_gather_cacheIhEEvPKT_PS1_PKiS6_iillllS6_.uses_flat_scratch, 0
	.set _ZN4vllm15cp_gather_cacheIhEEvPKT_PS1_PKiS6_iillllS6_.has_dyn_sized_stack, 0
	.set _ZN4vllm15cp_gather_cacheIhEEvPKT_PS1_PKiS6_iillllS6_.has_recursion, 0
	.set _ZN4vllm15cp_gather_cacheIhEEvPKT_PS1_PKiS6_iillllS6_.has_indirect_call, 0
	.section	.AMDGPU.csdata,"",@progbits
; Kernel info:
; codeLenInByte = 804
; TotalNumSgprs: 32
; NumVgprs: 6
; ScratchSize: 0
; MemoryBound: 0
; FloatMode: 240
; IeeeMode: 1
; LDSByteSize: 0 bytes/workgroup (compile time only)
; SGPRBlocks: 0
; VGPRBlocks: 0
; NumSGPRsForWavesPerEU: 32
; NumVGPRsForWavesPerEU: 6
; Occupancy: 16
; WaveLimiterHint : 1
; COMPUTE_PGM_RSRC2:SCRATCH_EN: 0
; COMPUTE_PGM_RSRC2:USER_SGPR: 2
; COMPUTE_PGM_RSRC2:TRAP_HANDLER: 0
; COMPUTE_PGM_RSRC2:TGID_X_EN: 1
; COMPUTE_PGM_RSRC2:TGID_Y_EN: 1
; COMPUTE_PGM_RSRC2:TGID_Z_EN: 0
; COMPUTE_PGM_RSRC2:TIDIG_COMP_CNT: 0
	.text
	.p2alignl 7, 3214868480
	.fill 96, 4, 3214868480
	.section	.AMDGPU.gpr_maximums,"",@progbits
	.set amdgpu.max_num_vgpr, 49
	.set amdgpu.max_num_agpr, 0
	.set amdgpu.max_num_sgpr, 34
	.text
	.type	__const.__assert_fail.fmt,@object ; @__const.__assert_fail.fmt
	.section	.rodata.str1.16,"aMS",@progbits,1
	.p2align	4, 0x0
__const.__assert_fail.fmt:
	.asciz	"%s:%u: %s: Device-side assertion `%s' failed.\n"
	.size	__const.__assert_fail.fmt, 47

	.type	.str,@object                    ; @.str
	.section	.rodata.str1.1,"aMS",@progbits,1
.str:
	.asciz	"false"
	.size	.str, 6

	.type	.str.1,@object                  ; @.str.1
.str.1:
	.asciz	"/root/src/amdgpu-assembly/repos/ROCm__vllm/csrc/quantization/fp8/amd/quant_utils_hip.cuh"
	.size	.str.1, 89

	.type	__PRETTY_FUNCTION__._ZN4vllm3fp814scaled_convertIhfLNS_18Fp8KVCacheDataTypeE0EEET_RKT0_f,@object ; @__PRETTY_FUNCTION__._ZN4vllm3fp814scaled_convertIhfLNS_18Fp8KVCacheDataTypeE0EEET_RKT0_f
__PRETTY_FUNCTION__._ZN4vllm3fp814scaled_convertIhfLNS_18Fp8KVCacheDataTypeE0EEET_RKT0_f:
	.asciz	"Tout vllm::fp8::scaled_convert(const Tin &, const float) [Tout = unsigned char, Tin = float, kv_dt = vllm::Fp8KVCacheDataType::kAuto]"
	.size	__PRETTY_FUNCTION__._ZN4vllm3fp814scaled_convertIhfLNS_18Fp8KVCacheDataTypeE0EEET_RKT0_f, 134

	.type	__PRETTY_FUNCTION__._ZN4vllm3fp814scaled_convertIhtLNS_18Fp8KVCacheDataTypeE0EEET_RKT0_f,@object ; @__PRETTY_FUNCTION__._ZN4vllm3fp814scaled_convertIhtLNS_18Fp8KVCacheDataTypeE0EEET_RKT0_f
__PRETTY_FUNCTION__._ZN4vllm3fp814scaled_convertIhtLNS_18Fp8KVCacheDataTypeE0EEET_RKT0_f:
	.asciz	"Tout vllm::fp8::scaled_convert(const Tin &, const float) [Tout = unsigned char, Tin = unsigned short, kv_dt = vllm::Fp8KVCacheDataType::kAuto]"
	.size	__PRETTY_FUNCTION__._ZN4vllm3fp814scaled_convertIhtLNS_18Fp8KVCacheDataTypeE0EEET_RKT0_f, 143

	.type	__PRETTY_FUNCTION__._ZN4vllm3fp814scaled_convertIh14__hip_bfloat16LNS_18Fp8KVCacheDataTypeE0EEET_RKT0_f,@object ; @__PRETTY_FUNCTION__._ZN4vllm3fp814scaled_convertIh14__hip_bfloat16LNS_18Fp8KVCacheDataTypeE0EEET_RKT0_f
__PRETTY_FUNCTION__._ZN4vllm3fp814scaled_convertIh14__hip_bfloat16LNS_18Fp8KVCacheDataTypeE0EEET_RKT0_f:
	.asciz	"Tout vllm::fp8::scaled_convert(const Tin &, const float) [Tout = unsigned char, Tin = __hip_bfloat16, kv_dt = vllm::Fp8KVCacheDataType::kAuto]"
	.size	__PRETTY_FUNCTION__._ZN4vllm3fp814scaled_convertIh14__hip_bfloat16LNS_18Fp8KVCacheDataTypeE0EEET_RKT0_f, 143

	.type	__PRETTY_FUNCTION__._ZN4vllm3fp814scaled_convertIfhLNS_18Fp8KVCacheDataTypeE0EEET_RKT0_f,@object ; @__PRETTY_FUNCTION__._ZN4vllm3fp814scaled_convertIfhLNS_18Fp8KVCacheDataTypeE0EEET_RKT0_f
__PRETTY_FUNCTION__._ZN4vllm3fp814scaled_convertIfhLNS_18Fp8KVCacheDataTypeE0EEET_RKT0_f:
	.asciz	"Tout vllm::fp8::scaled_convert(const Tin &, const float) [Tout = float, Tin = unsigned char, kv_dt = vllm::Fp8KVCacheDataType::kAuto]"
	.size	__PRETTY_FUNCTION__._ZN4vllm3fp814scaled_convertIfhLNS_18Fp8KVCacheDataTypeE0EEET_RKT0_f, 134

	.type	__PRETTY_FUNCTION__._ZN4vllm3fp814scaled_convertIthLNS_18Fp8KVCacheDataTypeE0EEET_RKT0_f,@object ; @__PRETTY_FUNCTION__._ZN4vllm3fp814scaled_convertIthLNS_18Fp8KVCacheDataTypeE0EEET_RKT0_f
__PRETTY_FUNCTION__._ZN4vllm3fp814scaled_convertIthLNS_18Fp8KVCacheDataTypeE0EEET_RKT0_f:
	.asciz	"Tout vllm::fp8::scaled_convert(const Tin &, const float) [Tout = unsigned short, Tin = unsigned char, kv_dt = vllm::Fp8KVCacheDataType::kAuto]"
	.size	__PRETTY_FUNCTION__._ZN4vllm3fp814scaled_convertIthLNS_18Fp8KVCacheDataTypeE0EEET_RKT0_f, 143

	.type	__PRETTY_FUNCTION__._ZN4vllm3fp814scaled_convertI14__hip_bfloat16hLNS_18Fp8KVCacheDataTypeE0EEET_RKT0_f,@object ; @__PRETTY_FUNCTION__._ZN4vllm3fp814scaled_convertI14__hip_bfloat16hLNS_18Fp8KVCacheDataTypeE0EEET_RKT0_f
__PRETTY_FUNCTION__._ZN4vllm3fp814scaled_convertI14__hip_bfloat16hLNS_18Fp8KVCacheDataTypeE0EEET_RKT0_f:
	.asciz	"Tout vllm::fp8::scaled_convert(const Tin &, const float) [Tout = __hip_bfloat16, Tin = unsigned char, kv_dt = vllm::Fp8KVCacheDataType::kAuto]"
	.size	__PRETTY_FUNCTION__._ZN4vllm3fp814scaled_convertI14__hip_bfloat16hLNS_18Fp8KVCacheDataTypeE0EEET_RKT0_f, 143

	.type	__hip_cuid_39970261ee30e568,@object ; @__hip_cuid_39970261ee30e568
	.section	.bss,"aw",@nobits
	.globl	__hip_cuid_39970261ee30e568
__hip_cuid_39970261ee30e568:
	.byte	0                               ; 0x0
	.size	__hip_cuid_39970261ee30e568, 1

	.ident	"AMD clang version 22.0.0git (https://github.com/RadeonOpenCompute/llvm-project roc-7.2.4 26084 f58b06dce1f9c15707c5f808fd002e18c2accf7e)"
	.section	".note.GNU-stack","",@progbits
	.addrsig
	.addrsig_sym __hip_cuid_39970261ee30e568
	.amdgpu_metadata
---
amdhsa.kernels:
  - .args:
      - .address_space:  global
        .offset:         0
        .size:           8
        .value_kind:     global_buffer
      - .address_space:  global
        .offset:         8
        .size:           8
        .value_kind:     global_buffer
      - .actual_access:  read_only
        .address_space:  global
        .offset:         16
        .size:           8
        .value_kind:     global_buffer
      - .offset:         24
        .size:           4
        .value_kind:     by_value
      - .offset:         32
        .size:           4
        .value_kind:     hidden_block_count_x
      - .offset:         36
        .size:           4
        .value_kind:     hidden_block_count_y
      - .offset:         40
        .size:           4
        .value_kind:     hidden_block_count_z
      - .offset:         44
        .size:           2
        .value_kind:     hidden_group_size_x
      - .offset:         46
        .size:           2
        .value_kind:     hidden_group_size_y
      - .offset:         48
        .size:           2
        .value_kind:     hidden_group_size_z
      - .offset:         50
        .size:           2
        .value_kind:     hidden_remainder_x
      - .offset:         52
        .size:           2
        .value_kind:     hidden_remainder_y
      - .offset:         54
        .size:           2
        .value_kind:     hidden_remainder_z
      - .offset:         72
        .size:           8
        .value_kind:     hidden_global_offset_x
      - .offset:         80
        .size:           8
        .value_kind:     hidden_global_offset_y
      - .offset:         88
        .size:           8
        .value_kind:     hidden_global_offset_z
      - .offset:         96
        .size:           2
        .value_kind:     hidden_grid_dims
    .group_segment_fixed_size: 0
    .kernarg_segment_align: 8
    .kernarg_segment_size: 288
    .language:       OpenCL C
    .language_version:
      - 2
      - 0
    .max_flat_workgroup_size: 1024
    .name:           _ZN4vllm18copy_blocks_kernelIfEEvPlS1_PKli
    .private_segment_fixed_size: 0
    .sgpr_count:     19
    .sgpr_spill_count: 0
    .symbol:         _ZN4vllm18copy_blocks_kernelIfEEvPlS1_PKli.kd
    .uniform_work_group_size: 1
    .uses_dynamic_stack: false
    .vgpr_count:     6
    .vgpr_spill_count: 0
    .wavefront_size: 32
    .workgroup_processor_mode: 1
  - .args:
      - .address_space:  global
        .offset:         0
        .size:           8
        .value_kind:     global_buffer
      - .address_space:  global
        .offset:         8
        .size:           8
        .value_kind:     global_buffer
      - .actual_access:  read_only
        .address_space:  global
        .offset:         16
        .size:           8
        .value_kind:     global_buffer
      - .offset:         24
        .size:           4
        .value_kind:     by_value
      - .offset:         32
        .size:           4
        .value_kind:     hidden_block_count_x
      - .offset:         36
        .size:           4
        .value_kind:     hidden_block_count_y
      - .offset:         40
        .size:           4
        .value_kind:     hidden_block_count_z
      - .offset:         44
        .size:           2
        .value_kind:     hidden_group_size_x
      - .offset:         46
        .size:           2
        .value_kind:     hidden_group_size_y
      - .offset:         48
        .size:           2
        .value_kind:     hidden_group_size_z
      - .offset:         50
        .size:           2
        .value_kind:     hidden_remainder_x
      - .offset:         52
        .size:           2
        .value_kind:     hidden_remainder_y
      - .offset:         54
        .size:           2
        .value_kind:     hidden_remainder_z
      - .offset:         72
        .size:           8
        .value_kind:     hidden_global_offset_x
      - .offset:         80
        .size:           8
        .value_kind:     hidden_global_offset_y
      - .offset:         88
        .size:           8
        .value_kind:     hidden_global_offset_z
      - .offset:         96
        .size:           2
        .value_kind:     hidden_grid_dims
    .group_segment_fixed_size: 0
    .kernarg_segment_align: 8
    .kernarg_segment_size: 288
    .language:       OpenCL C
    .language_version:
      - 2
      - 0
    .max_flat_workgroup_size: 1024
    .name:           _ZN4vllm18copy_blocks_kernelIN3c104HalfEEEvPlS3_PKli
    .private_segment_fixed_size: 0
    .sgpr_count:     19
    .sgpr_spill_count: 0
    .symbol:         _ZN4vllm18copy_blocks_kernelIN3c104HalfEEEvPlS3_PKli.kd
    .uniform_work_group_size: 1
    .uses_dynamic_stack: false
    .vgpr_count:     6
    .vgpr_spill_count: 0
    .wavefront_size: 32
    .workgroup_processor_mode: 1
  - .args:
      - .address_space:  global
        .offset:         0
        .size:           8
        .value_kind:     global_buffer
      - .address_space:  global
        .offset:         8
        .size:           8
        .value_kind:     global_buffer
      - .actual_access:  read_only
        .address_space:  global
        .offset:         16
        .size:           8
        .value_kind:     global_buffer
      - .offset:         24
        .size:           4
        .value_kind:     by_value
      - .offset:         32
        .size:           4
        .value_kind:     hidden_block_count_x
      - .offset:         36
        .size:           4
        .value_kind:     hidden_block_count_y
      - .offset:         40
        .size:           4
        .value_kind:     hidden_block_count_z
      - .offset:         44
        .size:           2
        .value_kind:     hidden_group_size_x
      - .offset:         46
        .size:           2
        .value_kind:     hidden_group_size_y
      - .offset:         48
        .size:           2
        .value_kind:     hidden_group_size_z
      - .offset:         50
        .size:           2
        .value_kind:     hidden_remainder_x
      - .offset:         52
        .size:           2
        .value_kind:     hidden_remainder_y
      - .offset:         54
        .size:           2
        .value_kind:     hidden_remainder_z
      - .offset:         72
        .size:           8
        .value_kind:     hidden_global_offset_x
      - .offset:         80
        .size:           8
        .value_kind:     hidden_global_offset_y
      - .offset:         88
        .size:           8
        .value_kind:     hidden_global_offset_z
      - .offset:         96
        .size:           2
        .value_kind:     hidden_grid_dims
    .group_segment_fixed_size: 0
    .kernarg_segment_align: 8
    .kernarg_segment_size: 288
    .language:       OpenCL C
    .language_version:
      - 2
      - 0
    .max_flat_workgroup_size: 1024
    .name:           _ZN4vllm18copy_blocks_kernelIN3c108BFloat16EEEvPlS3_PKli
    .private_segment_fixed_size: 0
    .sgpr_count:     19
    .sgpr_spill_count: 0
    .symbol:         _ZN4vllm18copy_blocks_kernelIN3c108BFloat16EEEvPlS3_PKli.kd
    .uniform_work_group_size: 1
    .uses_dynamic_stack: false
    .vgpr_count:     6
    .vgpr_spill_count: 0
    .wavefront_size: 32
    .workgroup_processor_mode: 1
  - .args:
      - .address_space:  global
        .offset:         0
        .size:           8
        .value_kind:     global_buffer
      - .address_space:  global
        .offset:         8
        .size:           8
        .value_kind:     global_buffer
      - .actual_access:  read_only
        .address_space:  global
        .offset:         16
        .size:           8
        .value_kind:     global_buffer
      - .offset:         24
        .size:           4
        .value_kind:     by_value
      - .offset:         32
        .size:           4
        .value_kind:     hidden_block_count_x
      - .offset:         36
        .size:           4
        .value_kind:     hidden_block_count_y
      - .offset:         40
        .size:           4
        .value_kind:     hidden_block_count_z
      - .offset:         44
        .size:           2
        .value_kind:     hidden_group_size_x
      - .offset:         46
        .size:           2
        .value_kind:     hidden_group_size_y
      - .offset:         48
        .size:           2
        .value_kind:     hidden_group_size_z
      - .offset:         50
        .size:           2
        .value_kind:     hidden_remainder_x
      - .offset:         52
        .size:           2
        .value_kind:     hidden_remainder_y
      - .offset:         54
        .size:           2
        .value_kind:     hidden_remainder_z
      - .offset:         72
        .size:           8
        .value_kind:     hidden_global_offset_x
      - .offset:         80
        .size:           8
        .value_kind:     hidden_global_offset_y
      - .offset:         88
        .size:           8
        .value_kind:     hidden_global_offset_z
      - .offset:         96
        .size:           2
        .value_kind:     hidden_grid_dims
    .group_segment_fixed_size: 0
    .kernarg_segment_align: 8
    .kernarg_segment_size: 288
    .language:       OpenCL C
    .language_version:
      - 2
      - 0
    .max_flat_workgroup_size: 1024
    .name:           _ZN4vllm18copy_blocks_kernelIhEEvPlS1_PKli
    .private_segment_fixed_size: 0
    .sgpr_count:     19
    .sgpr_spill_count: 0
    .symbol:         _ZN4vllm18copy_blocks_kernelIhEEvPlS1_PKli.kd
    .uniform_work_group_size: 1
    .uses_dynamic_stack: false
    .vgpr_count:     6
    .vgpr_spill_count: 0
    .wavefront_size: 32
    .workgroup_processor_mode: 1
  - .args:
      - .address_space:  global
        .offset:         0
        .size:           8
        .value_kind:     global_buffer
      - .actual_access:  read_only
        .address_space:  global
        .offset:         8
        .size:           8
        .value_kind:     global_buffer
      - .offset:         16
        .size:           4
        .value_kind:     by_value
      - .offset:         24
        .size:           4
        .value_kind:     hidden_block_count_x
      - .offset:         28
        .size:           4
        .value_kind:     hidden_block_count_y
      - .offset:         32
        .size:           4
        .value_kind:     hidden_block_count_z
      - .offset:         36
        .size:           2
        .value_kind:     hidden_group_size_x
      - .offset:         38
        .size:           2
        .value_kind:     hidden_group_size_y
      - .offset:         40
        .size:           2
        .value_kind:     hidden_group_size_z
      - .offset:         42
        .size:           2
        .value_kind:     hidden_remainder_x
      - .offset:         44
        .size:           2
        .value_kind:     hidden_remainder_y
      - .offset:         46
        .size:           2
        .value_kind:     hidden_remainder_z
      - .offset:         64
        .size:           8
        .value_kind:     hidden_global_offset_x
      - .offset:         72
        .size:           8
        .value_kind:     hidden_global_offset_y
      - .offset:         80
        .size:           8
        .value_kind:     hidden_global_offset_z
      - .offset:         88
        .size:           2
        .value_kind:     hidden_grid_dims
    .group_segment_fixed_size: 0
    .kernarg_segment_align: 8
    .kernarg_segment_size: 280
    .language:       OpenCL C
    .language_version:
      - 2
      - 0
    .max_flat_workgroup_size: 1024
    .name:           _ZN4vllm22copy_blocks_mla_kernelIfEEvPlPKli
    .private_segment_fixed_size: 0
    .sgpr_count:     15
    .sgpr_spill_count: 0
    .symbol:         _ZN4vllm22copy_blocks_mla_kernelIfEEvPlPKli.kd
    .uniform_work_group_size: 1
    .uses_dynamic_stack: false
    .vgpr_count:     5
    .vgpr_spill_count: 0
    .wavefront_size: 32
    .workgroup_processor_mode: 1
  - .args:
      - .address_space:  global
        .offset:         0
        .size:           8
        .value_kind:     global_buffer
      - .actual_access:  read_only
        .address_space:  global
        .offset:         8
        .size:           8
        .value_kind:     global_buffer
      - .offset:         16
        .size:           4
        .value_kind:     by_value
      - .offset:         24
        .size:           4
        .value_kind:     hidden_block_count_x
      - .offset:         28
        .size:           4
        .value_kind:     hidden_block_count_y
      - .offset:         32
        .size:           4
        .value_kind:     hidden_block_count_z
      - .offset:         36
        .size:           2
        .value_kind:     hidden_group_size_x
      - .offset:         38
        .size:           2
        .value_kind:     hidden_group_size_y
      - .offset:         40
        .size:           2
        .value_kind:     hidden_group_size_z
      - .offset:         42
        .size:           2
        .value_kind:     hidden_remainder_x
      - .offset:         44
        .size:           2
        .value_kind:     hidden_remainder_y
      - .offset:         46
        .size:           2
        .value_kind:     hidden_remainder_z
      - .offset:         64
        .size:           8
        .value_kind:     hidden_global_offset_x
      - .offset:         72
        .size:           8
        .value_kind:     hidden_global_offset_y
      - .offset:         80
        .size:           8
        .value_kind:     hidden_global_offset_z
      - .offset:         88
        .size:           2
        .value_kind:     hidden_grid_dims
    .group_segment_fixed_size: 0
    .kernarg_segment_align: 8
    .kernarg_segment_size: 280
    .language:       OpenCL C
    .language_version:
      - 2
      - 0
    .max_flat_workgroup_size: 1024
    .name:           _ZN4vllm22copy_blocks_mla_kernelIN3c104HalfEEEvPlPKli
    .private_segment_fixed_size: 0
    .sgpr_count:     15
    .sgpr_spill_count: 0
    .symbol:         _ZN4vllm22copy_blocks_mla_kernelIN3c104HalfEEEvPlPKli.kd
    .uniform_work_group_size: 1
    .uses_dynamic_stack: false
    .vgpr_count:     5
    .vgpr_spill_count: 0
    .wavefront_size: 32
    .workgroup_processor_mode: 1
  - .args:
      - .address_space:  global
        .offset:         0
        .size:           8
        .value_kind:     global_buffer
      - .actual_access:  read_only
        .address_space:  global
        .offset:         8
        .size:           8
        .value_kind:     global_buffer
      - .offset:         16
        .size:           4
        .value_kind:     by_value
      - .offset:         24
        .size:           4
        .value_kind:     hidden_block_count_x
      - .offset:         28
        .size:           4
        .value_kind:     hidden_block_count_y
      - .offset:         32
        .size:           4
        .value_kind:     hidden_block_count_z
      - .offset:         36
        .size:           2
        .value_kind:     hidden_group_size_x
      - .offset:         38
        .size:           2
        .value_kind:     hidden_group_size_y
      - .offset:         40
        .size:           2
        .value_kind:     hidden_group_size_z
      - .offset:         42
        .size:           2
        .value_kind:     hidden_remainder_x
      - .offset:         44
        .size:           2
        .value_kind:     hidden_remainder_y
      - .offset:         46
        .size:           2
        .value_kind:     hidden_remainder_z
      - .offset:         64
        .size:           8
        .value_kind:     hidden_global_offset_x
      - .offset:         72
        .size:           8
        .value_kind:     hidden_global_offset_y
      - .offset:         80
        .size:           8
        .value_kind:     hidden_global_offset_z
      - .offset:         88
        .size:           2
        .value_kind:     hidden_grid_dims
    .group_segment_fixed_size: 0
    .kernarg_segment_align: 8
    .kernarg_segment_size: 280
    .language:       OpenCL C
    .language_version:
      - 2
      - 0
    .max_flat_workgroup_size: 1024
    .name:           _ZN4vllm22copy_blocks_mla_kernelIN3c108BFloat16EEEvPlPKli
    .private_segment_fixed_size: 0
    .sgpr_count:     15
    .sgpr_spill_count: 0
    .symbol:         _ZN4vllm22copy_blocks_mla_kernelIN3c108BFloat16EEEvPlPKli.kd
    .uniform_work_group_size: 1
    .uses_dynamic_stack: false
    .vgpr_count:     5
    .vgpr_spill_count: 0
    .wavefront_size: 32
    .workgroup_processor_mode: 1
  - .args:
      - .address_space:  global
        .offset:         0
        .size:           8
        .value_kind:     global_buffer
      - .actual_access:  read_only
        .address_space:  global
        .offset:         8
        .size:           8
        .value_kind:     global_buffer
      - .offset:         16
        .size:           4
        .value_kind:     by_value
      - .offset:         24
        .size:           4
        .value_kind:     hidden_block_count_x
      - .offset:         28
        .size:           4
        .value_kind:     hidden_block_count_y
      - .offset:         32
        .size:           4
        .value_kind:     hidden_block_count_z
      - .offset:         36
        .size:           2
        .value_kind:     hidden_group_size_x
      - .offset:         38
        .size:           2
        .value_kind:     hidden_group_size_y
      - .offset:         40
        .size:           2
        .value_kind:     hidden_group_size_z
      - .offset:         42
        .size:           2
        .value_kind:     hidden_remainder_x
      - .offset:         44
        .size:           2
        .value_kind:     hidden_remainder_y
      - .offset:         46
        .size:           2
        .value_kind:     hidden_remainder_z
      - .offset:         64
        .size:           8
        .value_kind:     hidden_global_offset_x
      - .offset:         72
        .size:           8
        .value_kind:     hidden_global_offset_y
      - .offset:         80
        .size:           8
        .value_kind:     hidden_global_offset_z
      - .offset:         88
        .size:           2
        .value_kind:     hidden_grid_dims
    .group_segment_fixed_size: 0
    .kernarg_segment_align: 8
    .kernarg_segment_size: 280
    .language:       OpenCL C
    .language_version:
      - 2
      - 0
    .max_flat_workgroup_size: 1024
    .name:           _ZN4vllm22copy_blocks_mla_kernelIhEEvPlPKli
    .private_segment_fixed_size: 0
    .sgpr_count:     15
    .sgpr_spill_count: 0
    .symbol:         _ZN4vllm22copy_blocks_mla_kernelIhEEvPlPKli.kd
    .uniform_work_group_size: 1
    .uses_dynamic_stack: false
    .vgpr_count:     5
    .vgpr_spill_count: 0
    .wavefront_size: 32
    .workgroup_processor_mode: 1
  - .args:
      - .actual_access:  read_only
        .address_space:  global
        .offset:         0
        .size:           8
        .value_kind:     global_buffer
      - .actual_access:  read_only
        .address_space:  global
        .offset:         8
        .size:           8
        .value_kind:     global_buffer
      - .actual_access:  write_only
        .address_space:  global
        .offset:         16
        .size:           8
        .value_kind:     global_buffer
      - .actual_access:  write_only
        .address_space:  global
        .offset:         24
        .size:           8
        .value_kind:     global_buffer
      - .actual_access:  read_only
        .address_space:  global
        .offset:         32
        .size:           8
        .value_kind:     global_buffer
      - .offset:         40
        .size:           4
        .value_kind:     by_value
      - .offset:         44
        .size:           4
        .value_kind:     by_value
      - .offset:         48
        .size:           4
        .value_kind:     by_value
      - .offset:         52
        .size:           4
        .value_kind:     by_value
      - .offset:         56
        .size:           4
        .value_kind:     by_value
      - .offset:         60
        .size:           4
        .value_kind:     by_value
      - .address_space:  global
        .offset:         64
        .size:           8
        .value_kind:     global_buffer
      - .address_space:  global
        .offset:         72
        .size:           8
        .value_kind:     global_buffer
      - .offset:         80
        .size:           4
        .value_kind:     hidden_block_count_x
      - .offset:         84
        .size:           4
        .value_kind:     hidden_block_count_y
      - .offset:         88
        .size:           4
        .value_kind:     hidden_block_count_z
      - .offset:         92
        .size:           2
        .value_kind:     hidden_group_size_x
      - .offset:         94
        .size:           2
        .value_kind:     hidden_group_size_y
      - .offset:         96
        .size:           2
        .value_kind:     hidden_group_size_z
      - .offset:         98
        .size:           2
        .value_kind:     hidden_remainder_x
      - .offset:         100
        .size:           2
        .value_kind:     hidden_remainder_y
      - .offset:         102
        .size:           2
        .value_kind:     hidden_remainder_z
      - .offset:         120
        .size:           8
        .value_kind:     hidden_global_offset_x
      - .offset:         128
        .size:           8
        .value_kind:     hidden_global_offset_y
      - .offset:         136
        .size:           8
        .value_kind:     hidden_global_offset_z
      - .offset:         144
        .size:           2
        .value_kind:     hidden_grid_dims
    .group_segment_fixed_size: 0
    .kernarg_segment_align: 8
    .kernarg_segment_size: 336
    .language:       OpenCL C
    .language_version:
      - 2
      - 0
    .max_flat_workgroup_size: 1024
    .name:           _ZN4vllm24reshape_and_cache_kernelIffLNS_18Fp8KVCacheDataTypeE0EEEvPKT_S4_PT0_S6_PKliiiiiiPKfSA_
    .private_segment_fixed_size: 0
    .sgpr_count:     41
    .sgpr_spill_count: 0
    .symbol:         _ZN4vllm24reshape_and_cache_kernelIffLNS_18Fp8KVCacheDataTypeE0EEEvPKT_S4_PT0_S6_PKliiiiiiPKfSA_.kd
    .uniform_work_group_size: 1
    .uses_dynamic_stack: false
    .vgpr_count:     15
    .vgpr_spill_count: 0
    .wavefront_size: 32
    .workgroup_processor_mode: 1
  - .args:
      - .actual_access:  read_only
        .address_space:  global
        .offset:         0
        .size:           8
        .value_kind:     global_buffer
      - .actual_access:  read_only
        .address_space:  global
        .offset:         8
        .size:           8
        .value_kind:     global_buffer
      - .actual_access:  write_only
        .address_space:  global
        .offset:         16
        .size:           8
        .value_kind:     global_buffer
      - .actual_access:  write_only
        .address_space:  global
        .offset:         24
        .size:           8
        .value_kind:     global_buffer
      - .actual_access:  read_only
        .address_space:  global
        .offset:         32
        .size:           8
        .value_kind:     global_buffer
      - .offset:         40
        .size:           4
        .value_kind:     by_value
      - .offset:         44
        .size:           4
        .value_kind:     by_value
      - .offset:         48
        .size:           4
        .value_kind:     by_value
      - .offset:         52
        .size:           4
        .value_kind:     by_value
      - .offset:         56
        .size:           4
        .value_kind:     by_value
      - .offset:         60
        .size:           4
        .value_kind:     by_value
      - .address_space:  global
        .offset:         64
        .size:           8
        .value_kind:     global_buffer
      - .address_space:  global
        .offset:         72
        .size:           8
        .value_kind:     global_buffer
      - .offset:         80
        .size:           4
        .value_kind:     hidden_block_count_x
      - .offset:         84
        .size:           4
        .value_kind:     hidden_block_count_y
      - .offset:         88
        .size:           4
        .value_kind:     hidden_block_count_z
      - .offset:         92
        .size:           2
        .value_kind:     hidden_group_size_x
      - .offset:         94
        .size:           2
        .value_kind:     hidden_group_size_y
      - .offset:         96
        .size:           2
        .value_kind:     hidden_group_size_z
      - .offset:         98
        .size:           2
        .value_kind:     hidden_remainder_x
      - .offset:         100
        .size:           2
        .value_kind:     hidden_remainder_y
      - .offset:         102
        .size:           2
        .value_kind:     hidden_remainder_z
      - .offset:         120
        .size:           8
        .value_kind:     hidden_global_offset_x
      - .offset:         128
        .size:           8
        .value_kind:     hidden_global_offset_y
      - .offset:         136
        .size:           8
        .value_kind:     hidden_global_offset_z
      - .offset:         144
        .size:           2
        .value_kind:     hidden_grid_dims
    .group_segment_fixed_size: 0
    .kernarg_segment_align: 8
    .kernarg_segment_size: 336
    .language:       OpenCL C
    .language_version:
      - 2
      - 0
    .max_flat_workgroup_size: 1024
    .name:           _ZN4vllm24reshape_and_cache_kernelIttLNS_18Fp8KVCacheDataTypeE0EEEvPKT_S4_PT0_S6_PKliiiiiiPKfSA_
    .private_segment_fixed_size: 0
    .sgpr_count:     41
    .sgpr_spill_count: 0
    .symbol:         _ZN4vllm24reshape_and_cache_kernelIttLNS_18Fp8KVCacheDataTypeE0EEEvPKT_S4_PT0_S6_PKliiiiiiPKfSA_.kd
    .uniform_work_group_size: 1
    .uses_dynamic_stack: false
    .vgpr_count:     15
    .vgpr_spill_count: 0
    .wavefront_size: 32
    .workgroup_processor_mode: 1
  - .args:
      - .actual_access:  read_only
        .address_space:  global
        .offset:         0
        .size:           8
        .value_kind:     global_buffer
      - .actual_access:  read_only
        .address_space:  global
        .offset:         8
        .size:           8
        .value_kind:     global_buffer
      - .actual_access:  write_only
        .address_space:  global
        .offset:         16
        .size:           8
        .value_kind:     global_buffer
      - .actual_access:  write_only
        .address_space:  global
        .offset:         24
        .size:           8
        .value_kind:     global_buffer
      - .actual_access:  read_only
        .address_space:  global
        .offset:         32
        .size:           8
        .value_kind:     global_buffer
      - .offset:         40
        .size:           4
        .value_kind:     by_value
      - .offset:         44
        .size:           4
        .value_kind:     by_value
      - .offset:         48
        .size:           4
        .value_kind:     by_value
      - .offset:         52
        .size:           4
        .value_kind:     by_value
      - .offset:         56
        .size:           4
        .value_kind:     by_value
      - .offset:         60
        .size:           4
        .value_kind:     by_value
      - .address_space:  global
        .offset:         64
        .size:           8
        .value_kind:     global_buffer
      - .address_space:  global
        .offset:         72
        .size:           8
        .value_kind:     global_buffer
      - .offset:         80
        .size:           4
        .value_kind:     hidden_block_count_x
      - .offset:         84
        .size:           4
        .value_kind:     hidden_block_count_y
      - .offset:         88
        .size:           4
        .value_kind:     hidden_block_count_z
      - .offset:         92
        .size:           2
        .value_kind:     hidden_group_size_x
      - .offset:         94
        .size:           2
        .value_kind:     hidden_group_size_y
      - .offset:         96
        .size:           2
        .value_kind:     hidden_group_size_z
      - .offset:         98
        .size:           2
        .value_kind:     hidden_remainder_x
      - .offset:         100
        .size:           2
        .value_kind:     hidden_remainder_y
      - .offset:         102
        .size:           2
        .value_kind:     hidden_remainder_z
      - .offset:         120
        .size:           8
        .value_kind:     hidden_global_offset_x
      - .offset:         128
        .size:           8
        .value_kind:     hidden_global_offset_y
      - .offset:         136
        .size:           8
        .value_kind:     hidden_global_offset_z
      - .offset:         144
        .size:           2
        .value_kind:     hidden_grid_dims
    .group_segment_fixed_size: 0
    .kernarg_segment_align: 8
    .kernarg_segment_size: 336
    .language:       OpenCL C
    .language_version:
      - 2
      - 0
    .max_flat_workgroup_size: 1024
    .name:           _ZN4vllm24reshape_and_cache_kernelI14__hip_bfloat16S1_LNS_18Fp8KVCacheDataTypeE0EEEvPKT_S5_PT0_S7_PKliiiiiiPKfSB_
    .private_segment_fixed_size: 0
    .sgpr_count:     41
    .sgpr_spill_count: 0
    .symbol:         _ZN4vllm24reshape_and_cache_kernelI14__hip_bfloat16S1_LNS_18Fp8KVCacheDataTypeE0EEEvPKT_S5_PT0_S7_PKliiiiiiPKfSB_.kd
    .uniform_work_group_size: 1
    .uses_dynamic_stack: false
    .vgpr_count:     15
    .vgpr_spill_count: 0
    .wavefront_size: 32
    .workgroup_processor_mode: 1
  - .args:
      - .actual_access:  read_only
        .address_space:  global
        .offset:         0
        .size:           8
        .value_kind:     global_buffer
      - .actual_access:  read_only
        .address_space:  global
        .offset:         8
        .size:           8
        .value_kind:     global_buffer
      - .actual_access:  write_only
        .address_space:  global
        .offset:         16
        .size:           8
        .value_kind:     global_buffer
      - .actual_access:  write_only
        .address_space:  global
        .offset:         24
        .size:           8
        .value_kind:     global_buffer
      - .actual_access:  read_only
        .address_space:  global
        .offset:         32
        .size:           8
        .value_kind:     global_buffer
      - .offset:         40
        .size:           4
        .value_kind:     by_value
      - .offset:         44
        .size:           4
        .value_kind:     by_value
      - .offset:         48
        .size:           4
        .value_kind:     by_value
      - .offset:         52
        .size:           4
        .value_kind:     by_value
      - .offset:         56
        .size:           4
        .value_kind:     by_value
      - .offset:         60
        .size:           4
        .value_kind:     by_value
      - .address_space:  global
        .offset:         64
        .size:           8
        .value_kind:     global_buffer
      - .address_space:  global
        .offset:         72
        .size:           8
        .value_kind:     global_buffer
      - .offset:         80
        .size:           4
        .value_kind:     hidden_block_count_x
      - .offset:         84
        .size:           4
        .value_kind:     hidden_block_count_y
      - .offset:         88
        .size:           4
        .value_kind:     hidden_block_count_z
      - .offset:         92
        .size:           2
        .value_kind:     hidden_group_size_x
      - .offset:         94
        .size:           2
        .value_kind:     hidden_group_size_y
      - .offset:         96
        .size:           2
        .value_kind:     hidden_group_size_z
      - .offset:         98
        .size:           2
        .value_kind:     hidden_remainder_x
      - .offset:         100
        .size:           2
        .value_kind:     hidden_remainder_y
      - .offset:         102
        .size:           2
        .value_kind:     hidden_remainder_z
      - .offset:         120
        .size:           8
        .value_kind:     hidden_global_offset_x
      - .offset:         128
        .size:           8
        .value_kind:     hidden_global_offset_y
      - .offset:         136
        .size:           8
        .value_kind:     hidden_global_offset_z
      - .offset:         144
        .size:           2
        .value_kind:     hidden_grid_dims
    .group_segment_fixed_size: 0
    .kernarg_segment_align: 8
    .kernarg_segment_size: 336
    .language:       OpenCL C
    .language_version:
      - 2
      - 0
    .max_flat_workgroup_size: 1024
    .name:           _ZN4vllm24reshape_and_cache_kernelIfhLNS_18Fp8KVCacheDataTypeE1EEEvPKT_S4_PT0_S6_PKliiiiiiPKfSA_
    .private_segment_fixed_size: 0
    .sgpr_count:     45
    .sgpr_spill_count: 0
    .symbol:         _ZN4vllm24reshape_and_cache_kernelIfhLNS_18Fp8KVCacheDataTypeE1EEEvPKT_S4_PT0_S6_PKliiiiiiPKfSA_.kd
    .uniform_work_group_size: 1
    .uses_dynamic_stack: false
    .vgpr_count:     25
    .vgpr_spill_count: 0
    .wavefront_size: 32
    .workgroup_processor_mode: 1
  - .args:
      - .actual_access:  read_only
        .address_space:  global
        .offset:         0
        .size:           8
        .value_kind:     global_buffer
      - .actual_access:  read_only
        .address_space:  global
        .offset:         8
        .size:           8
        .value_kind:     global_buffer
      - .actual_access:  write_only
        .address_space:  global
        .offset:         16
        .size:           8
        .value_kind:     global_buffer
      - .actual_access:  write_only
        .address_space:  global
        .offset:         24
        .size:           8
        .value_kind:     global_buffer
      - .actual_access:  read_only
        .address_space:  global
        .offset:         32
        .size:           8
        .value_kind:     global_buffer
      - .offset:         40
        .size:           4
        .value_kind:     by_value
      - .offset:         44
        .size:           4
        .value_kind:     by_value
      - .offset:         48
        .size:           4
        .value_kind:     by_value
      - .offset:         52
        .size:           4
        .value_kind:     by_value
      - .offset:         56
        .size:           4
        .value_kind:     by_value
      - .offset:         60
        .size:           4
        .value_kind:     by_value
      - .address_space:  global
        .offset:         64
        .size:           8
        .value_kind:     global_buffer
      - .address_space:  global
        .offset:         72
        .size:           8
        .value_kind:     global_buffer
      - .offset:         80
        .size:           4
        .value_kind:     hidden_block_count_x
      - .offset:         84
        .size:           4
        .value_kind:     hidden_block_count_y
      - .offset:         88
        .size:           4
        .value_kind:     hidden_block_count_z
      - .offset:         92
        .size:           2
        .value_kind:     hidden_group_size_x
      - .offset:         94
        .size:           2
        .value_kind:     hidden_group_size_y
      - .offset:         96
        .size:           2
        .value_kind:     hidden_group_size_z
      - .offset:         98
        .size:           2
        .value_kind:     hidden_remainder_x
      - .offset:         100
        .size:           2
        .value_kind:     hidden_remainder_y
      - .offset:         102
        .size:           2
        .value_kind:     hidden_remainder_z
      - .offset:         120
        .size:           8
        .value_kind:     hidden_global_offset_x
      - .offset:         128
        .size:           8
        .value_kind:     hidden_global_offset_y
      - .offset:         136
        .size:           8
        .value_kind:     hidden_global_offset_z
      - .offset:         144
        .size:           2
        .value_kind:     hidden_grid_dims
    .group_segment_fixed_size: 0
    .kernarg_segment_align: 8
    .kernarg_segment_size: 336
    .language:       OpenCL C
    .language_version:
      - 2
      - 0
    .max_flat_workgroup_size: 1024
    .name:           _ZN4vllm24reshape_and_cache_kernelIthLNS_18Fp8KVCacheDataTypeE1EEEvPKT_S4_PT0_S6_PKliiiiiiPKfSA_
    .private_segment_fixed_size: 0
    .sgpr_count:     45
    .sgpr_spill_count: 0
    .symbol:         _ZN4vllm24reshape_and_cache_kernelIthLNS_18Fp8KVCacheDataTypeE1EEEvPKT_S4_PT0_S6_PKliiiiiiPKfSA_.kd
    .uniform_work_group_size: 1
    .uses_dynamic_stack: false
    .vgpr_count:     23
    .vgpr_spill_count: 0
    .wavefront_size: 32
    .workgroup_processor_mode: 1
  - .args:
      - .actual_access:  read_only
        .address_space:  global
        .offset:         0
        .size:           8
        .value_kind:     global_buffer
      - .actual_access:  read_only
        .address_space:  global
        .offset:         8
        .size:           8
        .value_kind:     global_buffer
      - .actual_access:  write_only
        .address_space:  global
        .offset:         16
        .size:           8
        .value_kind:     global_buffer
      - .actual_access:  write_only
        .address_space:  global
        .offset:         24
        .size:           8
        .value_kind:     global_buffer
      - .actual_access:  read_only
        .address_space:  global
        .offset:         32
        .size:           8
        .value_kind:     global_buffer
      - .offset:         40
        .size:           4
        .value_kind:     by_value
      - .offset:         44
        .size:           4
        .value_kind:     by_value
      - .offset:         48
        .size:           4
        .value_kind:     by_value
      - .offset:         52
        .size:           4
        .value_kind:     by_value
      - .offset:         56
        .size:           4
        .value_kind:     by_value
      - .offset:         60
        .size:           4
        .value_kind:     by_value
      - .address_space:  global
        .offset:         64
        .size:           8
        .value_kind:     global_buffer
      - .address_space:  global
        .offset:         72
        .size:           8
        .value_kind:     global_buffer
      - .offset:         80
        .size:           4
        .value_kind:     hidden_block_count_x
      - .offset:         84
        .size:           4
        .value_kind:     hidden_block_count_y
      - .offset:         88
        .size:           4
        .value_kind:     hidden_block_count_z
      - .offset:         92
        .size:           2
        .value_kind:     hidden_group_size_x
      - .offset:         94
        .size:           2
        .value_kind:     hidden_group_size_y
      - .offset:         96
        .size:           2
        .value_kind:     hidden_group_size_z
      - .offset:         98
        .size:           2
        .value_kind:     hidden_remainder_x
      - .offset:         100
        .size:           2
        .value_kind:     hidden_remainder_y
      - .offset:         102
        .size:           2
        .value_kind:     hidden_remainder_z
      - .offset:         120
        .size:           8
        .value_kind:     hidden_global_offset_x
      - .offset:         128
        .size:           8
        .value_kind:     hidden_global_offset_y
      - .offset:         136
        .size:           8
        .value_kind:     hidden_global_offset_z
      - .offset:         144
        .size:           2
        .value_kind:     hidden_grid_dims
    .group_segment_fixed_size: 0
    .kernarg_segment_align: 8
    .kernarg_segment_size: 336
    .language:       OpenCL C
    .language_version:
      - 2
      - 0
    .max_flat_workgroup_size: 1024
    .name:           _ZN4vllm24reshape_and_cache_kernelI14__hip_bfloat16hLNS_18Fp8KVCacheDataTypeE1EEEvPKT_S5_PT0_S7_PKliiiiiiPKfSB_
    .private_segment_fixed_size: 0
    .sgpr_count:     45
    .sgpr_spill_count: 0
    .symbol:         _ZN4vllm24reshape_and_cache_kernelI14__hip_bfloat16hLNS_18Fp8KVCacheDataTypeE1EEEvPKT_S5_PT0_S7_PKliiiiiiPKfSB_.kd
    .uniform_work_group_size: 1
    .uses_dynamic_stack: false
    .vgpr_count:     25
    .vgpr_spill_count: 0
    .wavefront_size: 32
    .workgroup_processor_mode: 1
  - .args:
      - .address_space:  global
        .offset:         0
        .size:           8
        .value_kind:     global_buffer
      - .address_space:  global
        .offset:         8
        .size:           8
        .value_kind:     global_buffer
      - .actual_access:  write_only
        .address_space:  global
        .offset:         16
        .size:           8
        .value_kind:     global_buffer
      - .actual_access:  write_only
        .address_space:  global
        .offset:         24
        .size:           8
        .value_kind:     global_buffer
      - .actual_access:  read_only
        .address_space:  global
        .offset:         32
        .size:           8
        .value_kind:     global_buffer
      - .offset:         40
        .size:           8
        .value_kind:     by_value
      - .offset:         48
        .size:           8
        .value_kind:     by_value
      - .offset:         56
        .size:           8
        .value_kind:     by_value
      - .offset:         64
        .size:           8
        .value_kind:     by_value
      - .offset:         72
        .size:           8
        .value_kind:     by_value
      - .offset:         80
        .size:           4
        .value_kind:     by_value
      - .offset:         84
        .size:           4
        .value_kind:     by_value
      - .offset:         88
        .size:           4
        .value_kind:     by_value
      - .address_space:  global
        .offset:         96
        .size:           8
        .value_kind:     global_buffer
      - .address_space:  global
        .offset:         104
        .size:           8
        .value_kind:     global_buffer
      - .offset:         112
        .size:           4
        .value_kind:     hidden_block_count_x
      - .offset:         116
        .size:           4
        .value_kind:     hidden_block_count_y
      - .offset:         120
        .size:           4
        .value_kind:     hidden_block_count_z
      - .offset:         124
        .size:           2
        .value_kind:     hidden_group_size_x
      - .offset:         126
        .size:           2
        .value_kind:     hidden_group_size_y
      - .offset:         128
        .size:           2
        .value_kind:     hidden_group_size_z
      - .offset:         130
        .size:           2
        .value_kind:     hidden_remainder_x
      - .offset:         132
        .size:           2
        .value_kind:     hidden_remainder_y
      - .offset:         134
        .size:           2
        .value_kind:     hidden_remainder_z
      - .offset:         152
        .size:           8
        .value_kind:     hidden_global_offset_x
      - .offset:         160
        .size:           8
        .value_kind:     hidden_global_offset_y
      - .offset:         168
        .size:           8
        .value_kind:     hidden_global_offset_z
      - .offset:         176
        .size:           2
        .value_kind:     hidden_grid_dims
    .group_segment_fixed_size: 0
    .kernarg_segment_align: 8
    .kernarg_segment_size: 368
    .language:       OpenCL C
    .language_version:
      - 2
      - 0
    .max_flat_workgroup_size: 1024
    .name:           _ZN4vllm30reshape_and_cache_flash_kernelIffLNS_18Fp8KVCacheDataTypeE0EEEvPKT_S4_PT0_S6_PKlllllliiiPKfSA_
    .private_segment_fixed_size: 0
    .sgpr_count:     37
    .sgpr_spill_count: 0
    .symbol:         _ZN4vllm30reshape_and_cache_flash_kernelIffLNS_18Fp8KVCacheDataTypeE0EEEvPKT_S4_PT0_S6_PKlllllliiiPKfSA_.kd
    .uniform_work_group_size: 1
    .uses_dynamic_stack: false
    .vgpr_count:     40
    .vgpr_spill_count: 0
    .wavefront_size: 32
    .workgroup_processor_mode: 1
  - .args:
      - .address_space:  global
        .offset:         0
        .size:           8
        .value_kind:     global_buffer
      - .address_space:  global
        .offset:         8
        .size:           8
        .value_kind:     global_buffer
      - .actual_access:  write_only
        .address_space:  global
        .offset:         16
        .size:           8
        .value_kind:     global_buffer
      - .actual_access:  write_only
        .address_space:  global
        .offset:         24
        .size:           8
        .value_kind:     global_buffer
      - .actual_access:  read_only
        .address_space:  global
        .offset:         32
        .size:           8
        .value_kind:     global_buffer
      - .offset:         40
        .size:           8
        .value_kind:     by_value
      - .offset:         48
        .size:           8
        .value_kind:     by_value
      - .offset:         56
        .size:           8
        .value_kind:     by_value
      - .offset:         64
        .size:           8
        .value_kind:     by_value
      - .offset:         72
        .size:           8
        .value_kind:     by_value
      - .offset:         80
        .size:           4
        .value_kind:     by_value
      - .offset:         84
        .size:           4
        .value_kind:     by_value
      - .offset:         88
        .size:           4
        .value_kind:     by_value
      - .address_space:  global
        .offset:         96
        .size:           8
        .value_kind:     global_buffer
      - .address_space:  global
        .offset:         104
        .size:           8
        .value_kind:     global_buffer
      - .offset:         112
        .size:           4
        .value_kind:     hidden_block_count_x
      - .offset:         116
        .size:           4
        .value_kind:     hidden_block_count_y
      - .offset:         120
        .size:           4
        .value_kind:     hidden_block_count_z
      - .offset:         124
        .size:           2
        .value_kind:     hidden_group_size_x
      - .offset:         126
        .size:           2
        .value_kind:     hidden_group_size_y
      - .offset:         128
        .size:           2
        .value_kind:     hidden_group_size_z
      - .offset:         130
        .size:           2
        .value_kind:     hidden_remainder_x
      - .offset:         132
        .size:           2
        .value_kind:     hidden_remainder_y
      - .offset:         134
        .size:           2
        .value_kind:     hidden_remainder_z
      - .offset:         152
        .size:           8
        .value_kind:     hidden_global_offset_x
      - .offset:         160
        .size:           8
        .value_kind:     hidden_global_offset_y
      - .offset:         168
        .size:           8
        .value_kind:     hidden_global_offset_z
      - .offset:         176
        .size:           2
        .value_kind:     hidden_grid_dims
    .group_segment_fixed_size: 0
    .kernarg_segment_align: 8
    .kernarg_segment_size: 368
    .language:       OpenCL C
    .language_version:
      - 2
      - 0
    .max_flat_workgroup_size: 1024
    .name:           _ZN4vllm30reshape_and_cache_flash_kernelIttLNS_18Fp8KVCacheDataTypeE0EEEvPKT_S4_PT0_S6_PKlllllliiiPKfSA_
    .private_segment_fixed_size: 0
    .sgpr_count:     40
    .sgpr_spill_count: 0
    .symbol:         _ZN4vllm30reshape_and_cache_flash_kernelIttLNS_18Fp8KVCacheDataTypeE0EEEvPKT_S4_PT0_S6_PKlllllliiiPKfSA_.kd
    .uniform_work_group_size: 1
    .uses_dynamic_stack: false
    .vgpr_count:     53
    .vgpr_spill_count: 0
    .wavefront_size: 32
    .workgroup_processor_mode: 1
  - .args:
      - .address_space:  global
        .offset:         0
        .size:           8
        .value_kind:     global_buffer
      - .address_space:  global
        .offset:         8
        .size:           8
        .value_kind:     global_buffer
      - .actual_access:  write_only
        .address_space:  global
        .offset:         16
        .size:           8
        .value_kind:     global_buffer
      - .actual_access:  write_only
        .address_space:  global
        .offset:         24
        .size:           8
        .value_kind:     global_buffer
      - .actual_access:  read_only
        .address_space:  global
        .offset:         32
        .size:           8
        .value_kind:     global_buffer
      - .offset:         40
        .size:           8
        .value_kind:     by_value
      - .offset:         48
        .size:           8
        .value_kind:     by_value
      - .offset:         56
        .size:           8
        .value_kind:     by_value
      - .offset:         64
        .size:           8
        .value_kind:     by_value
      - .offset:         72
        .size:           8
        .value_kind:     by_value
      - .offset:         80
        .size:           4
        .value_kind:     by_value
      - .offset:         84
        .size:           4
        .value_kind:     by_value
      - .offset:         88
        .size:           4
        .value_kind:     by_value
      - .address_space:  global
        .offset:         96
        .size:           8
        .value_kind:     global_buffer
      - .address_space:  global
        .offset:         104
        .size:           8
        .value_kind:     global_buffer
      - .offset:         112
        .size:           4
        .value_kind:     hidden_block_count_x
      - .offset:         116
        .size:           4
        .value_kind:     hidden_block_count_y
      - .offset:         120
        .size:           4
        .value_kind:     hidden_block_count_z
      - .offset:         124
        .size:           2
        .value_kind:     hidden_group_size_x
      - .offset:         126
        .size:           2
        .value_kind:     hidden_group_size_y
      - .offset:         128
        .size:           2
        .value_kind:     hidden_group_size_z
      - .offset:         130
        .size:           2
        .value_kind:     hidden_remainder_x
      - .offset:         132
        .size:           2
        .value_kind:     hidden_remainder_y
      - .offset:         134
        .size:           2
        .value_kind:     hidden_remainder_z
      - .offset:         152
        .size:           8
        .value_kind:     hidden_global_offset_x
      - .offset:         160
        .size:           8
        .value_kind:     hidden_global_offset_y
      - .offset:         168
        .size:           8
        .value_kind:     hidden_global_offset_z
      - .offset:         176
        .size:           2
        .value_kind:     hidden_grid_dims
    .group_segment_fixed_size: 0
    .kernarg_segment_align: 8
    .kernarg_segment_size: 368
    .language:       OpenCL C
    .language_version:
      - 2
      - 0
    .max_flat_workgroup_size: 1024
    .name:           _ZN4vllm30reshape_and_cache_flash_kernelI14__hip_bfloat16S1_LNS_18Fp8KVCacheDataTypeE0EEEvPKT_S5_PT0_S7_PKlllllliiiPKfSB_
    .private_segment_fixed_size: 0
    .sgpr_count:     40
    .sgpr_spill_count: 0
    .symbol:         _ZN4vllm30reshape_and_cache_flash_kernelI14__hip_bfloat16S1_LNS_18Fp8KVCacheDataTypeE0EEEvPKT_S5_PT0_S7_PKlllllliiiPKfSB_.kd
    .uniform_work_group_size: 1
    .uses_dynamic_stack: false
    .vgpr_count:     53
    .vgpr_spill_count: 0
    .wavefront_size: 32
    .workgroup_processor_mode: 1
  - .args:
      - .address_space:  global
        .offset:         0
        .size:           8
        .value_kind:     global_buffer
      - .address_space:  global
        .offset:         8
        .size:           8
        .value_kind:     global_buffer
      - .actual_access:  write_only
        .address_space:  global
        .offset:         16
        .size:           8
        .value_kind:     global_buffer
      - .actual_access:  write_only
        .address_space:  global
        .offset:         24
        .size:           8
        .value_kind:     global_buffer
      - .actual_access:  read_only
        .address_space:  global
        .offset:         32
        .size:           8
        .value_kind:     global_buffer
      - .offset:         40
        .size:           8
        .value_kind:     by_value
      - .offset:         48
        .size:           8
        .value_kind:     by_value
      - .offset:         56
        .size:           8
        .value_kind:     by_value
      - .offset:         64
        .size:           8
        .value_kind:     by_value
      - .offset:         72
        .size:           8
        .value_kind:     by_value
      - .offset:         80
        .size:           4
        .value_kind:     by_value
      - .offset:         84
        .size:           4
        .value_kind:     by_value
      - .offset:         88
        .size:           4
        .value_kind:     by_value
      - .address_space:  global
        .offset:         96
        .size:           8
        .value_kind:     global_buffer
      - .address_space:  global
        .offset:         104
        .size:           8
        .value_kind:     global_buffer
      - .offset:         112
        .size:           4
        .value_kind:     hidden_block_count_x
      - .offset:         116
        .size:           4
        .value_kind:     hidden_block_count_y
      - .offset:         120
        .size:           4
        .value_kind:     hidden_block_count_z
      - .offset:         124
        .size:           2
        .value_kind:     hidden_group_size_x
      - .offset:         126
        .size:           2
        .value_kind:     hidden_group_size_y
      - .offset:         128
        .size:           2
        .value_kind:     hidden_group_size_z
      - .offset:         130
        .size:           2
        .value_kind:     hidden_remainder_x
      - .offset:         132
        .size:           2
        .value_kind:     hidden_remainder_y
      - .offset:         134
        .size:           2
        .value_kind:     hidden_remainder_z
      - .offset:         152
        .size:           8
        .value_kind:     hidden_global_offset_x
      - .offset:         160
        .size:           8
        .value_kind:     hidden_global_offset_y
      - .offset:         168
        .size:           8
        .value_kind:     hidden_global_offset_z
      - .offset:         176
        .size:           2
        .value_kind:     hidden_grid_dims
    .group_segment_fixed_size: 0
    .kernarg_segment_align: 8
    .kernarg_segment_size: 368
    .language:       OpenCL C
    .language_version:
      - 2
      - 0
    .max_flat_workgroup_size: 1024
    .name:           _ZN4vllm30reshape_and_cache_flash_kernelIfhLNS_18Fp8KVCacheDataTypeE1EEEvPKT_S4_PT0_S6_PKlllllliiiPKfSA_
    .private_segment_fixed_size: 0
    .sgpr_count:     51
    .sgpr_spill_count: 0
    .symbol:         _ZN4vllm30reshape_and_cache_flash_kernelIfhLNS_18Fp8KVCacheDataTypeE1EEEvPKT_S4_PT0_S6_PKlllllliiiPKfSA_.kd
    .uniform_work_group_size: 1
    .uses_dynamic_stack: false
    .vgpr_count:     67
    .vgpr_spill_count: 0
    .wavefront_size: 32
    .workgroup_processor_mode: 1
  - .args:
      - .address_space:  global
        .offset:         0
        .size:           8
        .value_kind:     global_buffer
      - .address_space:  global
        .offset:         8
        .size:           8
        .value_kind:     global_buffer
      - .actual_access:  write_only
        .address_space:  global
        .offset:         16
        .size:           8
        .value_kind:     global_buffer
      - .actual_access:  write_only
        .address_space:  global
        .offset:         24
        .size:           8
        .value_kind:     global_buffer
      - .actual_access:  read_only
        .address_space:  global
        .offset:         32
        .size:           8
        .value_kind:     global_buffer
      - .offset:         40
        .size:           8
        .value_kind:     by_value
      - .offset:         48
        .size:           8
        .value_kind:     by_value
      - .offset:         56
        .size:           8
        .value_kind:     by_value
      - .offset:         64
        .size:           8
        .value_kind:     by_value
      - .offset:         72
        .size:           8
        .value_kind:     by_value
      - .offset:         80
        .size:           4
        .value_kind:     by_value
      - .offset:         84
        .size:           4
        .value_kind:     by_value
      - .offset:         88
        .size:           4
        .value_kind:     by_value
      - .address_space:  global
        .offset:         96
        .size:           8
        .value_kind:     global_buffer
      - .address_space:  global
        .offset:         104
        .size:           8
        .value_kind:     global_buffer
      - .offset:         112
        .size:           4
        .value_kind:     hidden_block_count_x
      - .offset:         116
        .size:           4
        .value_kind:     hidden_block_count_y
      - .offset:         120
        .size:           4
        .value_kind:     hidden_block_count_z
      - .offset:         124
        .size:           2
        .value_kind:     hidden_group_size_x
      - .offset:         126
        .size:           2
        .value_kind:     hidden_group_size_y
      - .offset:         128
        .size:           2
        .value_kind:     hidden_group_size_z
      - .offset:         130
        .size:           2
        .value_kind:     hidden_remainder_x
      - .offset:         132
        .size:           2
        .value_kind:     hidden_remainder_y
      - .offset:         134
        .size:           2
        .value_kind:     hidden_remainder_z
      - .offset:         152
        .size:           8
        .value_kind:     hidden_global_offset_x
      - .offset:         160
        .size:           8
        .value_kind:     hidden_global_offset_y
      - .offset:         168
        .size:           8
        .value_kind:     hidden_global_offset_z
      - .offset:         176
        .size:           2
        .value_kind:     hidden_grid_dims
    .group_segment_fixed_size: 0
    .kernarg_segment_align: 8
    .kernarg_segment_size: 368
    .language:       OpenCL C
    .language_version:
      - 2
      - 0
    .max_flat_workgroup_size: 1024
    .name:           _ZN4vllm30reshape_and_cache_flash_kernelIthLNS_18Fp8KVCacheDataTypeE1EEEvPKT_S4_PT0_S6_PKlllllliiiPKfSA_
    .private_segment_fixed_size: 0
    .sgpr_count:     55
    .sgpr_spill_count: 0
    .symbol:         _ZN4vllm30reshape_and_cache_flash_kernelIthLNS_18Fp8KVCacheDataTypeE1EEEvPKT_S4_PT0_S6_PKlllllliiiPKfSA_.kd
    .uniform_work_group_size: 1
    .uses_dynamic_stack: false
    .vgpr_count:     87
    .vgpr_spill_count: 0
    .wavefront_size: 32
    .workgroup_processor_mode: 1
  - .args:
      - .address_space:  global
        .offset:         0
        .size:           8
        .value_kind:     global_buffer
      - .address_space:  global
        .offset:         8
        .size:           8
        .value_kind:     global_buffer
      - .actual_access:  write_only
        .address_space:  global
        .offset:         16
        .size:           8
        .value_kind:     global_buffer
      - .actual_access:  write_only
        .address_space:  global
        .offset:         24
        .size:           8
        .value_kind:     global_buffer
      - .actual_access:  read_only
        .address_space:  global
        .offset:         32
        .size:           8
        .value_kind:     global_buffer
      - .offset:         40
        .size:           8
        .value_kind:     by_value
      - .offset:         48
        .size:           8
        .value_kind:     by_value
      - .offset:         56
        .size:           8
        .value_kind:     by_value
      - .offset:         64
        .size:           8
        .value_kind:     by_value
      - .offset:         72
        .size:           8
        .value_kind:     by_value
      - .offset:         80
        .size:           4
        .value_kind:     by_value
      - .offset:         84
        .size:           4
        .value_kind:     by_value
      - .offset:         88
        .size:           4
        .value_kind:     by_value
      - .address_space:  global
        .offset:         96
        .size:           8
        .value_kind:     global_buffer
      - .address_space:  global
        .offset:         104
        .size:           8
        .value_kind:     global_buffer
      - .offset:         112
        .size:           4
        .value_kind:     hidden_block_count_x
      - .offset:         116
        .size:           4
        .value_kind:     hidden_block_count_y
      - .offset:         120
        .size:           4
        .value_kind:     hidden_block_count_z
      - .offset:         124
        .size:           2
        .value_kind:     hidden_group_size_x
      - .offset:         126
        .size:           2
        .value_kind:     hidden_group_size_y
      - .offset:         128
        .size:           2
        .value_kind:     hidden_group_size_z
      - .offset:         130
        .size:           2
        .value_kind:     hidden_remainder_x
      - .offset:         132
        .size:           2
        .value_kind:     hidden_remainder_y
      - .offset:         134
        .size:           2
        .value_kind:     hidden_remainder_z
      - .offset:         152
        .size:           8
        .value_kind:     hidden_global_offset_x
      - .offset:         160
        .size:           8
        .value_kind:     hidden_global_offset_y
      - .offset:         168
        .size:           8
        .value_kind:     hidden_global_offset_z
      - .offset:         176
        .size:           2
        .value_kind:     hidden_grid_dims
    .group_segment_fixed_size: 0
    .kernarg_segment_align: 8
    .kernarg_segment_size: 368
    .language:       OpenCL C
    .language_version:
      - 2
      - 0
    .max_flat_workgroup_size: 1024
    .name:           _ZN4vllm30reshape_and_cache_flash_kernelI14__hip_bfloat16hLNS_18Fp8KVCacheDataTypeE1EEEvPKT_S5_PT0_S7_PKlllllliiiPKfSB_
    .private_segment_fixed_size: 0
    .sgpr_count:     55
    .sgpr_spill_count: 0
    .symbol:         _ZN4vllm30reshape_and_cache_flash_kernelI14__hip_bfloat16hLNS_18Fp8KVCacheDataTypeE1EEEvPKT_S5_PT0_S7_PKlllllliiiPKfSB_.kd
    .uniform_work_group_size: 1
    .uses_dynamic_stack: false
    .vgpr_count:     91
    .vgpr_spill_count: 0
    .wavefront_size: 32
    .workgroup_processor_mode: 1
  - .args:
      - .actual_access:  read_only
        .address_space:  global
        .offset:         0
        .size:           8
        .value_kind:     global_buffer
      - .actual_access:  read_only
        .address_space:  global
        .offset:         8
        .size:           8
        .value_kind:     global_buffer
      - .actual_access:  write_only
        .address_space:  global
        .offset:         16
        .size:           8
        .value_kind:     global_buffer
      - .actual_access:  read_only
        .address_space:  global
        .offset:         24
        .size:           8
        .value_kind:     global_buffer
      - .offset:         32
        .size:           4
        .value_kind:     by_value
      - .offset:         36
        .size:           4
        .value_kind:     by_value
      - .offset:         40
        .size:           4
        .value_kind:     by_value
      - .offset:         44
        .size:           4
        .value_kind:     by_value
      - .offset:         48
        .size:           4
        .value_kind:     by_value
      - .offset:         52
        .size:           4
        .value_kind:     by_value
      - .offset:         56
        .size:           4
        .value_kind:     by_value
      - .address_space:  global
        .offset:         64
        .size:           8
        .value_kind:     global_buffer
      - .offset:         72
        .size:           4
        .value_kind:     hidden_block_count_x
      - .offset:         76
        .size:           4
        .value_kind:     hidden_block_count_y
      - .offset:         80
        .size:           4
        .value_kind:     hidden_block_count_z
      - .offset:         84
        .size:           2
        .value_kind:     hidden_group_size_x
      - .offset:         86
        .size:           2
        .value_kind:     hidden_group_size_y
      - .offset:         88
        .size:           2
        .value_kind:     hidden_group_size_z
      - .offset:         90
        .size:           2
        .value_kind:     hidden_remainder_x
      - .offset:         92
        .size:           2
        .value_kind:     hidden_remainder_y
      - .offset:         94
        .size:           2
        .value_kind:     hidden_remainder_z
      - .offset:         112
        .size:           8
        .value_kind:     hidden_global_offset_x
      - .offset:         120
        .size:           8
        .value_kind:     hidden_global_offset_y
      - .offset:         128
        .size:           8
        .value_kind:     hidden_global_offset_z
      - .offset:         136
        .size:           2
        .value_kind:     hidden_grid_dims
    .group_segment_fixed_size: 0
    .kernarg_segment_align: 8
    .kernarg_segment_size: 328
    .language:       OpenCL C
    .language_version:
      - 2
      - 0
    .max_flat_workgroup_size: 1024
    .name:           _ZN4vllm27concat_and_cache_mla_kernelIffLNS_18Fp8KVCacheDataTypeE0EEEvPKT_S4_PT0_PKliiiiiiiPKf
    .private_segment_fixed_size: 0
    .sgpr_count:     34
    .sgpr_spill_count: 0
    .symbol:         _ZN4vllm27concat_and_cache_mla_kernelIffLNS_18Fp8KVCacheDataTypeE0EEEvPKT_S4_PT0_PKliiiiiiiPKf.kd
    .uniform_work_group_size: 1
    .uses_dynamic_stack: false
    .vgpr_count:     6
    .vgpr_spill_count: 0
    .wavefront_size: 32
    .workgroup_processor_mode: 1
  - .args:
      - .actual_access:  read_only
        .address_space:  global
        .offset:         0
        .size:           8
        .value_kind:     global_buffer
      - .actual_access:  read_only
        .address_space:  global
        .offset:         8
        .size:           8
        .value_kind:     global_buffer
      - .actual_access:  write_only
        .address_space:  global
        .offset:         16
        .size:           8
        .value_kind:     global_buffer
      - .actual_access:  read_only
        .address_space:  global
        .offset:         24
        .size:           8
        .value_kind:     global_buffer
      - .offset:         32
        .size:           4
        .value_kind:     by_value
      - .offset:         36
        .size:           4
        .value_kind:     by_value
      - .offset:         40
        .size:           4
        .value_kind:     by_value
      - .offset:         44
        .size:           4
        .value_kind:     by_value
      - .offset:         48
        .size:           4
        .value_kind:     by_value
      - .offset:         52
        .size:           4
        .value_kind:     by_value
      - .offset:         56
        .size:           4
        .value_kind:     by_value
      - .address_space:  global
        .offset:         64
        .size:           8
        .value_kind:     global_buffer
      - .offset:         72
        .size:           4
        .value_kind:     hidden_block_count_x
      - .offset:         76
        .size:           4
        .value_kind:     hidden_block_count_y
      - .offset:         80
        .size:           4
        .value_kind:     hidden_block_count_z
      - .offset:         84
        .size:           2
        .value_kind:     hidden_group_size_x
      - .offset:         86
        .size:           2
        .value_kind:     hidden_group_size_y
      - .offset:         88
        .size:           2
        .value_kind:     hidden_group_size_z
      - .offset:         90
        .size:           2
        .value_kind:     hidden_remainder_x
      - .offset:         92
        .size:           2
        .value_kind:     hidden_remainder_y
      - .offset:         94
        .size:           2
        .value_kind:     hidden_remainder_z
      - .offset:         112
        .size:           8
        .value_kind:     hidden_global_offset_x
      - .offset:         120
        .size:           8
        .value_kind:     hidden_global_offset_y
      - .offset:         128
        .size:           8
        .value_kind:     hidden_global_offset_z
      - .offset:         136
        .size:           2
        .value_kind:     hidden_grid_dims
    .group_segment_fixed_size: 0
    .kernarg_segment_align: 8
    .kernarg_segment_size: 328
    .language:       OpenCL C
    .language_version:
      - 2
      - 0
    .max_flat_workgroup_size: 1024
    .name:           _ZN4vllm27concat_and_cache_mla_kernelIttLNS_18Fp8KVCacheDataTypeE0EEEvPKT_S4_PT0_PKliiiiiiiPKf
    .private_segment_fixed_size: 0
    .sgpr_count:     34
    .sgpr_spill_count: 0
    .symbol:         _ZN4vllm27concat_and_cache_mla_kernelIttLNS_18Fp8KVCacheDataTypeE0EEEvPKT_S4_PT0_PKliiiiiiiPKf.kd
    .uniform_work_group_size: 1
    .uses_dynamic_stack: false
    .vgpr_count:     6
    .vgpr_spill_count: 0
    .wavefront_size: 32
    .workgroup_processor_mode: 1
  - .args:
      - .actual_access:  read_only
        .address_space:  global
        .offset:         0
        .size:           8
        .value_kind:     global_buffer
      - .actual_access:  read_only
        .address_space:  global
        .offset:         8
        .size:           8
        .value_kind:     global_buffer
      - .actual_access:  write_only
        .address_space:  global
        .offset:         16
        .size:           8
        .value_kind:     global_buffer
      - .actual_access:  read_only
        .address_space:  global
        .offset:         24
        .size:           8
        .value_kind:     global_buffer
      - .offset:         32
        .size:           4
        .value_kind:     by_value
      - .offset:         36
        .size:           4
        .value_kind:     by_value
      - .offset:         40
        .size:           4
        .value_kind:     by_value
      - .offset:         44
        .size:           4
        .value_kind:     by_value
      - .offset:         48
        .size:           4
        .value_kind:     by_value
      - .offset:         52
        .size:           4
        .value_kind:     by_value
      - .offset:         56
        .size:           4
        .value_kind:     by_value
      - .address_space:  global
        .offset:         64
        .size:           8
        .value_kind:     global_buffer
      - .offset:         72
        .size:           4
        .value_kind:     hidden_block_count_x
      - .offset:         76
        .size:           4
        .value_kind:     hidden_block_count_y
      - .offset:         80
        .size:           4
        .value_kind:     hidden_block_count_z
      - .offset:         84
        .size:           2
        .value_kind:     hidden_group_size_x
      - .offset:         86
        .size:           2
        .value_kind:     hidden_group_size_y
      - .offset:         88
        .size:           2
        .value_kind:     hidden_group_size_z
      - .offset:         90
        .size:           2
        .value_kind:     hidden_remainder_x
      - .offset:         92
        .size:           2
        .value_kind:     hidden_remainder_y
      - .offset:         94
        .size:           2
        .value_kind:     hidden_remainder_z
      - .offset:         112
        .size:           8
        .value_kind:     hidden_global_offset_x
      - .offset:         120
        .size:           8
        .value_kind:     hidden_global_offset_y
      - .offset:         128
        .size:           8
        .value_kind:     hidden_global_offset_z
      - .offset:         136
        .size:           2
        .value_kind:     hidden_grid_dims
    .group_segment_fixed_size: 0
    .kernarg_segment_align: 8
    .kernarg_segment_size: 328
    .language:       OpenCL C
    .language_version:
      - 2
      - 0
    .max_flat_workgroup_size: 1024
    .name:           _ZN4vllm27concat_and_cache_mla_kernelI14__hip_bfloat16S1_LNS_18Fp8KVCacheDataTypeE0EEEvPKT_S5_PT0_PKliiiiiiiPKf
    .private_segment_fixed_size: 0
    .sgpr_count:     34
    .sgpr_spill_count: 0
    .symbol:         _ZN4vllm27concat_and_cache_mla_kernelI14__hip_bfloat16S1_LNS_18Fp8KVCacheDataTypeE0EEEvPKT_S5_PT0_PKliiiiiiiPKf.kd
    .uniform_work_group_size: 1
    .uses_dynamic_stack: false
    .vgpr_count:     6
    .vgpr_spill_count: 0
    .wavefront_size: 32
    .workgroup_processor_mode: 1
  - .args:
      - .actual_access:  read_only
        .address_space:  global
        .offset:         0
        .size:           8
        .value_kind:     global_buffer
      - .actual_access:  read_only
        .address_space:  global
        .offset:         8
        .size:           8
        .value_kind:     global_buffer
      - .actual_access:  write_only
        .address_space:  global
        .offset:         16
        .size:           8
        .value_kind:     global_buffer
      - .actual_access:  read_only
        .address_space:  global
        .offset:         24
        .size:           8
        .value_kind:     global_buffer
      - .offset:         32
        .size:           4
        .value_kind:     by_value
      - .offset:         36
        .size:           4
        .value_kind:     by_value
      - .offset:         40
        .size:           4
        .value_kind:     by_value
      - .offset:         44
        .size:           4
        .value_kind:     by_value
      - .offset:         48
        .size:           4
        .value_kind:     by_value
      - .offset:         52
        .size:           4
        .value_kind:     by_value
      - .offset:         56
        .size:           4
        .value_kind:     by_value
      - .address_space:  global
        .offset:         64
        .size:           8
        .value_kind:     global_buffer
      - .offset:         72
        .size:           4
        .value_kind:     hidden_block_count_x
      - .offset:         76
        .size:           4
        .value_kind:     hidden_block_count_y
      - .offset:         80
        .size:           4
        .value_kind:     hidden_block_count_z
      - .offset:         84
        .size:           2
        .value_kind:     hidden_group_size_x
      - .offset:         86
        .size:           2
        .value_kind:     hidden_group_size_y
      - .offset:         88
        .size:           2
        .value_kind:     hidden_group_size_z
      - .offset:         90
        .size:           2
        .value_kind:     hidden_remainder_x
      - .offset:         92
        .size:           2
        .value_kind:     hidden_remainder_y
      - .offset:         94
        .size:           2
        .value_kind:     hidden_remainder_z
      - .offset:         112
        .size:           8
        .value_kind:     hidden_global_offset_x
      - .offset:         120
        .size:           8
        .value_kind:     hidden_global_offset_y
      - .offset:         128
        .size:           8
        .value_kind:     hidden_global_offset_z
      - .offset:         136
        .size:           2
        .value_kind:     hidden_grid_dims
    .group_segment_fixed_size: 0
    .kernarg_segment_align: 8
    .kernarg_segment_size: 328
    .language:       OpenCL C
    .language_version:
      - 2
      - 0
    .max_flat_workgroup_size: 1024
    .name:           _ZN4vllm27concat_and_cache_mla_kernelIfhLNS_18Fp8KVCacheDataTypeE1EEEvPKT_S4_PT0_PKliiiiiiiPKf
    .private_segment_fixed_size: 0
    .sgpr_count:     34
    .sgpr_spill_count: 0
    .symbol:         _ZN4vllm27concat_and_cache_mla_kernelIfhLNS_18Fp8KVCacheDataTypeE1EEEvPKT_S4_PT0_PKliiiiiiiPKf.kd
    .uniform_work_group_size: 1
    .uses_dynamic_stack: false
    .vgpr_count:     9
    .vgpr_spill_count: 0
    .wavefront_size: 32
    .workgroup_processor_mode: 1
  - .args:
      - .actual_access:  read_only
        .address_space:  global
        .offset:         0
        .size:           8
        .value_kind:     global_buffer
      - .actual_access:  read_only
        .address_space:  global
        .offset:         8
        .size:           8
        .value_kind:     global_buffer
      - .actual_access:  write_only
        .address_space:  global
        .offset:         16
        .size:           8
        .value_kind:     global_buffer
      - .actual_access:  read_only
        .address_space:  global
        .offset:         24
        .size:           8
        .value_kind:     global_buffer
      - .offset:         32
        .size:           4
        .value_kind:     by_value
      - .offset:         36
        .size:           4
        .value_kind:     by_value
      - .offset:         40
        .size:           4
        .value_kind:     by_value
      - .offset:         44
        .size:           4
        .value_kind:     by_value
      - .offset:         48
        .size:           4
        .value_kind:     by_value
      - .offset:         52
        .size:           4
        .value_kind:     by_value
      - .offset:         56
        .size:           4
        .value_kind:     by_value
      - .address_space:  global
        .offset:         64
        .size:           8
        .value_kind:     global_buffer
      - .offset:         72
        .size:           4
        .value_kind:     hidden_block_count_x
      - .offset:         76
        .size:           4
        .value_kind:     hidden_block_count_y
      - .offset:         80
        .size:           4
        .value_kind:     hidden_block_count_z
      - .offset:         84
        .size:           2
        .value_kind:     hidden_group_size_x
      - .offset:         86
        .size:           2
        .value_kind:     hidden_group_size_y
      - .offset:         88
        .size:           2
        .value_kind:     hidden_group_size_z
      - .offset:         90
        .size:           2
        .value_kind:     hidden_remainder_x
      - .offset:         92
        .size:           2
        .value_kind:     hidden_remainder_y
      - .offset:         94
        .size:           2
        .value_kind:     hidden_remainder_z
      - .offset:         112
        .size:           8
        .value_kind:     hidden_global_offset_x
      - .offset:         120
        .size:           8
        .value_kind:     hidden_global_offset_y
      - .offset:         128
        .size:           8
        .value_kind:     hidden_global_offset_z
      - .offset:         136
        .size:           2
        .value_kind:     hidden_grid_dims
    .group_segment_fixed_size: 0
    .kernarg_segment_align: 8
    .kernarg_segment_size: 328
    .language:       OpenCL C
    .language_version:
      - 2
      - 0
    .max_flat_workgroup_size: 1024
    .name:           _ZN4vllm27concat_and_cache_mla_kernelIthLNS_18Fp8KVCacheDataTypeE1EEEvPKT_S4_PT0_PKliiiiiiiPKf
    .private_segment_fixed_size: 0
    .sgpr_count:     34
    .sgpr_spill_count: 0
    .symbol:         _ZN4vllm27concat_and_cache_mla_kernelIthLNS_18Fp8KVCacheDataTypeE1EEEvPKT_S4_PT0_PKliiiiiiiPKf.kd
    .uniform_work_group_size: 1
    .uses_dynamic_stack: false
    .vgpr_count:     9
    .vgpr_spill_count: 0
    .wavefront_size: 32
    .workgroup_processor_mode: 1
  - .args:
      - .actual_access:  read_only
        .address_space:  global
        .offset:         0
        .size:           8
        .value_kind:     global_buffer
      - .actual_access:  read_only
        .address_space:  global
        .offset:         8
        .size:           8
        .value_kind:     global_buffer
      - .actual_access:  write_only
        .address_space:  global
        .offset:         16
        .size:           8
        .value_kind:     global_buffer
      - .actual_access:  read_only
        .address_space:  global
        .offset:         24
        .size:           8
        .value_kind:     global_buffer
      - .offset:         32
        .size:           4
        .value_kind:     by_value
      - .offset:         36
        .size:           4
        .value_kind:     by_value
      - .offset:         40
        .size:           4
        .value_kind:     by_value
      - .offset:         44
        .size:           4
        .value_kind:     by_value
      - .offset:         48
        .size:           4
        .value_kind:     by_value
      - .offset:         52
        .size:           4
        .value_kind:     by_value
      - .offset:         56
        .size:           4
        .value_kind:     by_value
      - .address_space:  global
        .offset:         64
        .size:           8
        .value_kind:     global_buffer
      - .offset:         72
        .size:           4
        .value_kind:     hidden_block_count_x
      - .offset:         76
        .size:           4
        .value_kind:     hidden_block_count_y
      - .offset:         80
        .size:           4
        .value_kind:     hidden_block_count_z
      - .offset:         84
        .size:           2
        .value_kind:     hidden_group_size_x
      - .offset:         86
        .size:           2
        .value_kind:     hidden_group_size_y
      - .offset:         88
        .size:           2
        .value_kind:     hidden_group_size_z
      - .offset:         90
        .size:           2
        .value_kind:     hidden_remainder_x
      - .offset:         92
        .size:           2
        .value_kind:     hidden_remainder_y
      - .offset:         94
        .size:           2
        .value_kind:     hidden_remainder_z
      - .offset:         112
        .size:           8
        .value_kind:     hidden_global_offset_x
      - .offset:         120
        .size:           8
        .value_kind:     hidden_global_offset_y
      - .offset:         128
        .size:           8
        .value_kind:     hidden_global_offset_z
      - .offset:         136
        .size:           2
        .value_kind:     hidden_grid_dims
    .group_segment_fixed_size: 0
    .kernarg_segment_align: 8
    .kernarg_segment_size: 328
    .language:       OpenCL C
    .language_version:
      - 2
      - 0
    .max_flat_workgroup_size: 1024
    .name:           _ZN4vllm27concat_and_cache_mla_kernelI14__hip_bfloat16hLNS_18Fp8KVCacheDataTypeE1EEEvPKT_S5_PT0_PKliiiiiiiPKf
    .private_segment_fixed_size: 0
    .sgpr_count:     34
    .sgpr_spill_count: 0
    .symbol:         _ZN4vllm27concat_and_cache_mla_kernelI14__hip_bfloat16hLNS_18Fp8KVCacheDataTypeE1EEEvPKT_S5_PT0_PKliiiiiiiPKf.kd
    .uniform_work_group_size: 1
    .uses_dynamic_stack: false
    .vgpr_count:     9
    .vgpr_spill_count: 0
    .wavefront_size: 32
    .workgroup_processor_mode: 1
  - .args:
      - .actual_access:  read_only
        .address_space:  global
        .offset:         0
        .size:           8
        .value_kind:     global_buffer
      - .actual_access:  read_only
        .address_space:  global
        .offset:         8
        .size:           8
        .value_kind:     global_buffer
      - .offset:         16
        .size:           4
        .value_kind:     by_value
      - .offset:         24
        .size:           8
        .value_kind:     by_value
      - .offset:         32
        .size:           4
        .value_kind:     hidden_block_count_x
      - .offset:         36
        .size:           4
        .value_kind:     hidden_block_count_y
      - .offset:         40
        .size:           4
        .value_kind:     hidden_block_count_z
      - .offset:         44
        .size:           2
        .value_kind:     hidden_group_size_x
      - .offset:         46
        .size:           2
        .value_kind:     hidden_group_size_y
      - .offset:         48
        .size:           2
        .value_kind:     hidden_group_size_z
      - .offset:         50
        .size:           2
        .value_kind:     hidden_remainder_x
      - .offset:         52
        .size:           2
        .value_kind:     hidden_remainder_y
      - .offset:         54
        .size:           2
        .value_kind:     hidden_remainder_z
      - .offset:         72
        .size:           8
        .value_kind:     hidden_global_offset_x
      - .offset:         80
        .size:           8
        .value_kind:     hidden_global_offset_y
      - .offset:         88
        .size:           8
        .value_kind:     hidden_global_offset_z
      - .offset:         96
        .size:           2
        .value_kind:     hidden_grid_dims
      - .offset:         112
        .size:           8
        .value_kind:     hidden_hostcall_buffer
    .group_segment_fixed_size: 0
    .kernarg_segment_align: 8
    .kernarg_segment_size: 288
    .language:       OpenCL C
    .language_version:
      - 2
      - 0
    .max_flat_workgroup_size: 1024
    .name:           _ZN4vllm18convert_fp8_kernelIhfLNS_18Fp8KVCacheDataTypeE0EEEvPKT0_PT_fl
    .private_segment_fixed_size: 64
    .sgpr_count:     36
    .sgpr_spill_count: 0
    .symbol:         _ZN4vllm18convert_fp8_kernelIhfLNS_18Fp8KVCacheDataTypeE0EEEvPKT0_PT_fl.kd
    .uniform_work_group_size: 1
    .uses_dynamic_stack: false
    .vgpr_count:     49
    .vgpr_spill_count: 0
    .wavefront_size: 32
    .workgroup_processor_mode: 1
  - .args:
      - .actual_access:  read_only
        .address_space:  global
        .offset:         0
        .size:           8
        .value_kind:     global_buffer
      - .actual_access:  read_only
        .address_space:  global
        .offset:         8
        .size:           8
        .value_kind:     global_buffer
      - .offset:         16
        .size:           4
        .value_kind:     by_value
      - .offset:         24
        .size:           8
        .value_kind:     by_value
      - .offset:         32
        .size:           4
        .value_kind:     hidden_block_count_x
      - .offset:         36
        .size:           4
        .value_kind:     hidden_block_count_y
      - .offset:         40
        .size:           4
        .value_kind:     hidden_block_count_z
      - .offset:         44
        .size:           2
        .value_kind:     hidden_group_size_x
      - .offset:         46
        .size:           2
        .value_kind:     hidden_group_size_y
      - .offset:         48
        .size:           2
        .value_kind:     hidden_group_size_z
      - .offset:         50
        .size:           2
        .value_kind:     hidden_remainder_x
      - .offset:         52
        .size:           2
        .value_kind:     hidden_remainder_y
      - .offset:         54
        .size:           2
        .value_kind:     hidden_remainder_z
      - .offset:         72
        .size:           8
        .value_kind:     hidden_global_offset_x
      - .offset:         80
        .size:           8
        .value_kind:     hidden_global_offset_y
      - .offset:         88
        .size:           8
        .value_kind:     hidden_global_offset_z
      - .offset:         96
        .size:           2
        .value_kind:     hidden_grid_dims
      - .offset:         112
        .size:           8
        .value_kind:     hidden_hostcall_buffer
    .group_segment_fixed_size: 0
    .kernarg_segment_align: 8
    .kernarg_segment_size: 288
    .language:       OpenCL C
    .language_version:
      - 2
      - 0
    .max_flat_workgroup_size: 1024
    .name:           _ZN4vllm18convert_fp8_kernelIhtLNS_18Fp8KVCacheDataTypeE0EEEvPKT0_PT_fl
    .private_segment_fixed_size: 64
    .sgpr_count:     36
    .sgpr_spill_count: 0
    .symbol:         _ZN4vllm18convert_fp8_kernelIhtLNS_18Fp8KVCacheDataTypeE0EEEvPKT0_PT_fl.kd
    .uniform_work_group_size: 1
    .uses_dynamic_stack: false
    .vgpr_count:     49
    .vgpr_spill_count: 0
    .wavefront_size: 32
    .workgroup_processor_mode: 1
  - .args:
      - .actual_access:  read_only
        .address_space:  global
        .offset:         0
        .size:           8
        .value_kind:     global_buffer
      - .actual_access:  read_only
        .address_space:  global
        .offset:         8
        .size:           8
        .value_kind:     global_buffer
      - .offset:         16
        .size:           4
        .value_kind:     by_value
      - .offset:         24
        .size:           8
        .value_kind:     by_value
      - .offset:         32
        .size:           4
        .value_kind:     hidden_block_count_x
      - .offset:         36
        .size:           4
        .value_kind:     hidden_block_count_y
      - .offset:         40
        .size:           4
        .value_kind:     hidden_block_count_z
      - .offset:         44
        .size:           2
        .value_kind:     hidden_group_size_x
      - .offset:         46
        .size:           2
        .value_kind:     hidden_group_size_y
      - .offset:         48
        .size:           2
        .value_kind:     hidden_group_size_z
      - .offset:         50
        .size:           2
        .value_kind:     hidden_remainder_x
      - .offset:         52
        .size:           2
        .value_kind:     hidden_remainder_y
      - .offset:         54
        .size:           2
        .value_kind:     hidden_remainder_z
      - .offset:         72
        .size:           8
        .value_kind:     hidden_global_offset_x
      - .offset:         80
        .size:           8
        .value_kind:     hidden_global_offset_y
      - .offset:         88
        .size:           8
        .value_kind:     hidden_global_offset_z
      - .offset:         96
        .size:           2
        .value_kind:     hidden_grid_dims
      - .offset:         112
        .size:           8
        .value_kind:     hidden_hostcall_buffer
    .group_segment_fixed_size: 0
    .kernarg_segment_align: 8
    .kernarg_segment_size: 288
    .language:       OpenCL C
    .language_version:
      - 2
      - 0
    .max_flat_workgroup_size: 1024
    .name:           _ZN4vllm18convert_fp8_kernelIh14__hip_bfloat16LNS_18Fp8KVCacheDataTypeE0EEEvPKT0_PT_fl
    .private_segment_fixed_size: 64
    .sgpr_count:     36
    .sgpr_spill_count: 0
    .symbol:         _ZN4vllm18convert_fp8_kernelIh14__hip_bfloat16LNS_18Fp8KVCacheDataTypeE0EEEvPKT0_PT_fl.kd
    .uniform_work_group_size: 1
    .uses_dynamic_stack: false
    .vgpr_count:     49
    .vgpr_spill_count: 0
    .wavefront_size: 32
    .workgroup_processor_mode: 1
  - .args:
      - .actual_access:  read_only
        .address_space:  global
        .offset:         0
        .size:           8
        .value_kind:     global_buffer
      - .actual_access:  read_only
        .address_space:  global
        .offset:         8
        .size:           8
        .value_kind:     global_buffer
      - .offset:         16
        .size:           4
        .value_kind:     by_value
      - .offset:         24
        .size:           8
        .value_kind:     by_value
      - .offset:         32
        .size:           4
        .value_kind:     hidden_block_count_x
      - .offset:         36
        .size:           4
        .value_kind:     hidden_block_count_y
      - .offset:         40
        .size:           4
        .value_kind:     hidden_block_count_z
      - .offset:         44
        .size:           2
        .value_kind:     hidden_group_size_x
      - .offset:         46
        .size:           2
        .value_kind:     hidden_group_size_y
      - .offset:         48
        .size:           2
        .value_kind:     hidden_group_size_z
      - .offset:         50
        .size:           2
        .value_kind:     hidden_remainder_x
      - .offset:         52
        .size:           2
        .value_kind:     hidden_remainder_y
      - .offset:         54
        .size:           2
        .value_kind:     hidden_remainder_z
      - .offset:         72
        .size:           8
        .value_kind:     hidden_global_offset_x
      - .offset:         80
        .size:           8
        .value_kind:     hidden_global_offset_y
      - .offset:         88
        .size:           8
        .value_kind:     hidden_global_offset_z
      - .offset:         96
        .size:           2
        .value_kind:     hidden_grid_dims
      - .offset:         112
        .size:           8
        .value_kind:     hidden_hostcall_buffer
    .group_segment_fixed_size: 0
    .kernarg_segment_align: 8
    .kernarg_segment_size: 288
    .language:       OpenCL C
    .language_version:
      - 2
      - 0
    .max_flat_workgroup_size: 1024
    .name:           _ZN4vllm18convert_fp8_kernelIfhLNS_18Fp8KVCacheDataTypeE0EEEvPKT0_PT_fl
    .private_segment_fixed_size: 64
    .sgpr_count:     36
    .sgpr_spill_count: 0
    .symbol:         _ZN4vllm18convert_fp8_kernelIfhLNS_18Fp8KVCacheDataTypeE0EEEvPKT0_PT_fl.kd
    .uniform_work_group_size: 1
    .uses_dynamic_stack: false
    .vgpr_count:     49
    .vgpr_spill_count: 0
    .wavefront_size: 32
    .workgroup_processor_mode: 1
  - .args:
      - .actual_access:  read_only
        .address_space:  global
        .offset:         0
        .size:           8
        .value_kind:     global_buffer
      - .actual_access:  read_only
        .address_space:  global
        .offset:         8
        .size:           8
        .value_kind:     global_buffer
      - .offset:         16
        .size:           4
        .value_kind:     by_value
      - .offset:         24
        .size:           8
        .value_kind:     by_value
      - .offset:         32
        .size:           4
        .value_kind:     hidden_block_count_x
      - .offset:         36
        .size:           4
        .value_kind:     hidden_block_count_y
      - .offset:         40
        .size:           4
        .value_kind:     hidden_block_count_z
      - .offset:         44
        .size:           2
        .value_kind:     hidden_group_size_x
      - .offset:         46
        .size:           2
        .value_kind:     hidden_group_size_y
      - .offset:         48
        .size:           2
        .value_kind:     hidden_group_size_z
      - .offset:         50
        .size:           2
        .value_kind:     hidden_remainder_x
      - .offset:         52
        .size:           2
        .value_kind:     hidden_remainder_y
      - .offset:         54
        .size:           2
        .value_kind:     hidden_remainder_z
      - .offset:         72
        .size:           8
        .value_kind:     hidden_global_offset_x
      - .offset:         80
        .size:           8
        .value_kind:     hidden_global_offset_y
      - .offset:         88
        .size:           8
        .value_kind:     hidden_global_offset_z
      - .offset:         96
        .size:           2
        .value_kind:     hidden_grid_dims
      - .offset:         112
        .size:           8
        .value_kind:     hidden_hostcall_buffer
    .group_segment_fixed_size: 0
    .kernarg_segment_align: 8
    .kernarg_segment_size: 288
    .language:       OpenCL C
    .language_version:
      - 2
      - 0
    .max_flat_workgroup_size: 1024
    .name:           _ZN4vllm18convert_fp8_kernelIthLNS_18Fp8KVCacheDataTypeE0EEEvPKT0_PT_fl
    .private_segment_fixed_size: 64
    .sgpr_count:     36
    .sgpr_spill_count: 0
    .symbol:         _ZN4vllm18convert_fp8_kernelIthLNS_18Fp8KVCacheDataTypeE0EEEvPKT0_PT_fl.kd
    .uniform_work_group_size: 1
    .uses_dynamic_stack: false
    .vgpr_count:     49
    .vgpr_spill_count: 0
    .wavefront_size: 32
    .workgroup_processor_mode: 1
  - .args:
      - .actual_access:  read_only
        .address_space:  global
        .offset:         0
        .size:           8
        .value_kind:     global_buffer
      - .actual_access:  read_only
        .address_space:  global
        .offset:         8
        .size:           8
        .value_kind:     global_buffer
      - .offset:         16
        .size:           4
        .value_kind:     by_value
      - .offset:         24
        .size:           8
        .value_kind:     by_value
      - .offset:         32
        .size:           4
        .value_kind:     hidden_block_count_x
      - .offset:         36
        .size:           4
        .value_kind:     hidden_block_count_y
      - .offset:         40
        .size:           4
        .value_kind:     hidden_block_count_z
      - .offset:         44
        .size:           2
        .value_kind:     hidden_group_size_x
      - .offset:         46
        .size:           2
        .value_kind:     hidden_group_size_y
      - .offset:         48
        .size:           2
        .value_kind:     hidden_group_size_z
      - .offset:         50
        .size:           2
        .value_kind:     hidden_remainder_x
      - .offset:         52
        .size:           2
        .value_kind:     hidden_remainder_y
      - .offset:         54
        .size:           2
        .value_kind:     hidden_remainder_z
      - .offset:         72
        .size:           8
        .value_kind:     hidden_global_offset_x
      - .offset:         80
        .size:           8
        .value_kind:     hidden_global_offset_y
      - .offset:         88
        .size:           8
        .value_kind:     hidden_global_offset_z
      - .offset:         96
        .size:           2
        .value_kind:     hidden_grid_dims
      - .offset:         112
        .size:           8
        .value_kind:     hidden_hostcall_buffer
    .group_segment_fixed_size: 0
    .kernarg_segment_align: 8
    .kernarg_segment_size: 288
    .language:       OpenCL C
    .language_version:
      - 2
      - 0
    .max_flat_workgroup_size: 1024
    .name:           _ZN4vllm18convert_fp8_kernelI14__hip_bfloat16hLNS_18Fp8KVCacheDataTypeE0EEEvPKT0_PT_fl
    .private_segment_fixed_size: 64
    .sgpr_count:     36
    .sgpr_spill_count: 0
    .symbol:         _ZN4vllm18convert_fp8_kernelI14__hip_bfloat16hLNS_18Fp8KVCacheDataTypeE0EEEvPKT0_PT_fl.kd
    .uniform_work_group_size: 1
    .uses_dynamic_stack: false
    .vgpr_count:     49
    .vgpr_spill_count: 0
    .wavefront_size: 32
    .workgroup_processor_mode: 1
  - .args:
      - .actual_access:  read_only
        .address_space:  global
        .offset:         0
        .size:           8
        .value_kind:     global_buffer
      - .actual_access:  write_only
        .address_space:  global
        .offset:         8
        .size:           8
        .value_kind:     global_buffer
      - .offset:         16
        .size:           4
        .value_kind:     by_value
      - .offset:         24
        .size:           8
        .value_kind:     by_value
      - .offset:         32
        .size:           4
        .value_kind:     hidden_block_count_x
      - .offset:         36
        .size:           4
        .value_kind:     hidden_block_count_y
      - .offset:         40
        .size:           4
        .value_kind:     hidden_block_count_z
      - .offset:         44
        .size:           2
        .value_kind:     hidden_group_size_x
      - .offset:         46
        .size:           2
        .value_kind:     hidden_group_size_y
      - .offset:         48
        .size:           2
        .value_kind:     hidden_group_size_z
      - .offset:         50
        .size:           2
        .value_kind:     hidden_remainder_x
      - .offset:         52
        .size:           2
        .value_kind:     hidden_remainder_y
      - .offset:         54
        .size:           2
        .value_kind:     hidden_remainder_z
      - .offset:         72
        .size:           8
        .value_kind:     hidden_global_offset_x
      - .offset:         80
        .size:           8
        .value_kind:     hidden_global_offset_y
      - .offset:         88
        .size:           8
        .value_kind:     hidden_global_offset_z
      - .offset:         96
        .size:           2
        .value_kind:     hidden_grid_dims
    .group_segment_fixed_size: 0
    .kernarg_segment_align: 8
    .kernarg_segment_size: 288
    .language:       OpenCL C
    .language_version:
      - 2
      - 0
    .max_flat_workgroup_size: 1024
    .name:           _ZN4vllm18convert_fp8_kernelIhfLNS_18Fp8KVCacheDataTypeE1EEEvPKT0_PT_fl
    .private_segment_fixed_size: 0
    .sgpr_count:     15
    .sgpr_spill_count: 0
    .symbol:         _ZN4vllm18convert_fp8_kernelIhfLNS_18Fp8KVCacheDataTypeE1EEEvPKT0_PT_fl.kd
    .uniform_work_group_size: 1
    .uses_dynamic_stack: false
    .vgpr_count:     9
    .vgpr_spill_count: 0
    .wavefront_size: 32
    .workgroup_processor_mode: 1
  - .args:
      - .actual_access:  read_only
        .address_space:  global
        .offset:         0
        .size:           8
        .value_kind:     global_buffer
      - .actual_access:  write_only
        .address_space:  global
        .offset:         8
        .size:           8
        .value_kind:     global_buffer
      - .offset:         16
        .size:           4
        .value_kind:     by_value
      - .offset:         24
        .size:           8
        .value_kind:     by_value
      - .offset:         32
        .size:           4
        .value_kind:     hidden_block_count_x
      - .offset:         36
        .size:           4
        .value_kind:     hidden_block_count_y
      - .offset:         40
        .size:           4
        .value_kind:     hidden_block_count_z
      - .offset:         44
        .size:           2
        .value_kind:     hidden_group_size_x
      - .offset:         46
        .size:           2
        .value_kind:     hidden_group_size_y
      - .offset:         48
        .size:           2
        .value_kind:     hidden_group_size_z
      - .offset:         50
        .size:           2
        .value_kind:     hidden_remainder_x
      - .offset:         52
        .size:           2
        .value_kind:     hidden_remainder_y
      - .offset:         54
        .size:           2
        .value_kind:     hidden_remainder_z
      - .offset:         72
        .size:           8
        .value_kind:     hidden_global_offset_x
      - .offset:         80
        .size:           8
        .value_kind:     hidden_global_offset_y
      - .offset:         88
        .size:           8
        .value_kind:     hidden_global_offset_z
      - .offset:         96
        .size:           2
        .value_kind:     hidden_grid_dims
    .group_segment_fixed_size: 0
    .kernarg_segment_align: 8
    .kernarg_segment_size: 288
    .language:       OpenCL C
    .language_version:
      - 2
      - 0
    .max_flat_workgroup_size: 1024
    .name:           _ZN4vllm18convert_fp8_kernelIhtLNS_18Fp8KVCacheDataTypeE1EEEvPKT0_PT_fl
    .private_segment_fixed_size: 0
    .sgpr_count:     15
    .sgpr_spill_count: 0
    .symbol:         _ZN4vllm18convert_fp8_kernelIhtLNS_18Fp8KVCacheDataTypeE1EEEvPKT0_PT_fl.kd
    .uniform_work_group_size: 1
    .uses_dynamic_stack: false
    .vgpr_count:     9
    .vgpr_spill_count: 0
    .wavefront_size: 32
    .workgroup_processor_mode: 1
  - .args:
      - .actual_access:  read_only
        .address_space:  global
        .offset:         0
        .size:           8
        .value_kind:     global_buffer
      - .actual_access:  write_only
        .address_space:  global
        .offset:         8
        .size:           8
        .value_kind:     global_buffer
      - .offset:         16
        .size:           4
        .value_kind:     by_value
      - .offset:         24
        .size:           8
        .value_kind:     by_value
      - .offset:         32
        .size:           4
        .value_kind:     hidden_block_count_x
      - .offset:         36
        .size:           4
        .value_kind:     hidden_block_count_y
      - .offset:         40
        .size:           4
        .value_kind:     hidden_block_count_z
      - .offset:         44
        .size:           2
        .value_kind:     hidden_group_size_x
      - .offset:         46
        .size:           2
        .value_kind:     hidden_group_size_y
      - .offset:         48
        .size:           2
        .value_kind:     hidden_group_size_z
      - .offset:         50
        .size:           2
        .value_kind:     hidden_remainder_x
      - .offset:         52
        .size:           2
        .value_kind:     hidden_remainder_y
      - .offset:         54
        .size:           2
        .value_kind:     hidden_remainder_z
      - .offset:         72
        .size:           8
        .value_kind:     hidden_global_offset_x
      - .offset:         80
        .size:           8
        .value_kind:     hidden_global_offset_y
      - .offset:         88
        .size:           8
        .value_kind:     hidden_global_offset_z
      - .offset:         96
        .size:           2
        .value_kind:     hidden_grid_dims
    .group_segment_fixed_size: 0
    .kernarg_segment_align: 8
    .kernarg_segment_size: 288
    .language:       OpenCL C
    .language_version:
      - 2
      - 0
    .max_flat_workgroup_size: 1024
    .name:           _ZN4vllm18convert_fp8_kernelIh14__hip_bfloat16LNS_18Fp8KVCacheDataTypeE1EEEvPKT0_PT_fl
    .private_segment_fixed_size: 0
    .sgpr_count:     15
    .sgpr_spill_count: 0
    .symbol:         _ZN4vllm18convert_fp8_kernelIh14__hip_bfloat16LNS_18Fp8KVCacheDataTypeE1EEEvPKT0_PT_fl.kd
    .uniform_work_group_size: 1
    .uses_dynamic_stack: false
    .vgpr_count:     9
    .vgpr_spill_count: 0
    .wavefront_size: 32
    .workgroup_processor_mode: 1
  - .args:
      - .actual_access:  read_only
        .address_space:  global
        .offset:         0
        .size:           8
        .value_kind:     global_buffer
      - .actual_access:  write_only
        .address_space:  global
        .offset:         8
        .size:           8
        .value_kind:     global_buffer
      - .offset:         16
        .size:           4
        .value_kind:     by_value
      - .offset:         24
        .size:           8
        .value_kind:     by_value
      - .offset:         32
        .size:           4
        .value_kind:     hidden_block_count_x
      - .offset:         36
        .size:           4
        .value_kind:     hidden_block_count_y
      - .offset:         40
        .size:           4
        .value_kind:     hidden_block_count_z
      - .offset:         44
        .size:           2
        .value_kind:     hidden_group_size_x
      - .offset:         46
        .size:           2
        .value_kind:     hidden_group_size_y
      - .offset:         48
        .size:           2
        .value_kind:     hidden_group_size_z
      - .offset:         50
        .size:           2
        .value_kind:     hidden_remainder_x
      - .offset:         52
        .size:           2
        .value_kind:     hidden_remainder_y
      - .offset:         54
        .size:           2
        .value_kind:     hidden_remainder_z
      - .offset:         72
        .size:           8
        .value_kind:     hidden_global_offset_x
      - .offset:         80
        .size:           8
        .value_kind:     hidden_global_offset_y
      - .offset:         88
        .size:           8
        .value_kind:     hidden_global_offset_z
      - .offset:         96
        .size:           2
        .value_kind:     hidden_grid_dims
    .group_segment_fixed_size: 0
    .kernarg_segment_align: 8
    .kernarg_segment_size: 288
    .language:       OpenCL C
    .language_version:
      - 2
      - 0
    .max_flat_workgroup_size: 1024
    .name:           _ZN4vllm18convert_fp8_kernelIfhLNS_18Fp8KVCacheDataTypeE1EEEvPKT0_PT_fl
    .private_segment_fixed_size: 0
    .sgpr_count:     15
    .sgpr_spill_count: 0
    .symbol:         _ZN4vllm18convert_fp8_kernelIfhLNS_18Fp8KVCacheDataTypeE1EEEvPKT0_PT_fl.kd
    .uniform_work_group_size: 1
    .uses_dynamic_stack: false
    .vgpr_count:     7
    .vgpr_spill_count: 0
    .wavefront_size: 32
    .workgroup_processor_mode: 1
  - .args:
      - .actual_access:  read_only
        .address_space:  global
        .offset:         0
        .size:           8
        .value_kind:     global_buffer
      - .actual_access:  write_only
        .address_space:  global
        .offset:         8
        .size:           8
        .value_kind:     global_buffer
      - .offset:         16
        .size:           4
        .value_kind:     by_value
      - .offset:         24
        .size:           8
        .value_kind:     by_value
      - .offset:         32
        .size:           4
        .value_kind:     hidden_block_count_x
      - .offset:         36
        .size:           4
        .value_kind:     hidden_block_count_y
      - .offset:         40
        .size:           4
        .value_kind:     hidden_block_count_z
      - .offset:         44
        .size:           2
        .value_kind:     hidden_group_size_x
      - .offset:         46
        .size:           2
        .value_kind:     hidden_group_size_y
      - .offset:         48
        .size:           2
        .value_kind:     hidden_group_size_z
      - .offset:         50
        .size:           2
        .value_kind:     hidden_remainder_x
      - .offset:         52
        .size:           2
        .value_kind:     hidden_remainder_y
      - .offset:         54
        .size:           2
        .value_kind:     hidden_remainder_z
      - .offset:         72
        .size:           8
        .value_kind:     hidden_global_offset_x
      - .offset:         80
        .size:           8
        .value_kind:     hidden_global_offset_y
      - .offset:         88
        .size:           8
        .value_kind:     hidden_global_offset_z
      - .offset:         96
        .size:           2
        .value_kind:     hidden_grid_dims
    .group_segment_fixed_size: 0
    .kernarg_segment_align: 8
    .kernarg_segment_size: 288
    .language:       OpenCL C
    .language_version:
      - 2
      - 0
    .max_flat_workgroup_size: 1024
    .name:           _ZN4vllm18convert_fp8_kernelIthLNS_18Fp8KVCacheDataTypeE1EEEvPKT0_PT_fl
    .private_segment_fixed_size: 0
    .sgpr_count:     15
    .sgpr_spill_count: 0
    .symbol:         _ZN4vllm18convert_fp8_kernelIthLNS_18Fp8KVCacheDataTypeE1EEEvPKT0_PT_fl.kd
    .uniform_work_group_size: 1
    .uses_dynamic_stack: false
    .vgpr_count:     7
    .vgpr_spill_count: 0
    .wavefront_size: 32
    .workgroup_processor_mode: 1
  - .args:
      - .actual_access:  read_only
        .address_space:  global
        .offset:         0
        .size:           8
        .value_kind:     global_buffer
      - .actual_access:  write_only
        .address_space:  global
        .offset:         8
        .size:           8
        .value_kind:     global_buffer
      - .offset:         16
        .size:           4
        .value_kind:     by_value
      - .offset:         24
        .size:           8
        .value_kind:     by_value
      - .offset:         32
        .size:           4
        .value_kind:     hidden_block_count_x
      - .offset:         36
        .size:           4
        .value_kind:     hidden_block_count_y
      - .offset:         40
        .size:           4
        .value_kind:     hidden_block_count_z
      - .offset:         44
        .size:           2
        .value_kind:     hidden_group_size_x
      - .offset:         46
        .size:           2
        .value_kind:     hidden_group_size_y
      - .offset:         48
        .size:           2
        .value_kind:     hidden_group_size_z
      - .offset:         50
        .size:           2
        .value_kind:     hidden_remainder_x
      - .offset:         52
        .size:           2
        .value_kind:     hidden_remainder_y
      - .offset:         54
        .size:           2
        .value_kind:     hidden_remainder_z
      - .offset:         72
        .size:           8
        .value_kind:     hidden_global_offset_x
      - .offset:         80
        .size:           8
        .value_kind:     hidden_global_offset_y
      - .offset:         88
        .size:           8
        .value_kind:     hidden_global_offset_z
      - .offset:         96
        .size:           2
        .value_kind:     hidden_grid_dims
    .group_segment_fixed_size: 0
    .kernarg_segment_align: 8
    .kernarg_segment_size: 288
    .language:       OpenCL C
    .language_version:
      - 2
      - 0
    .max_flat_workgroup_size: 1024
    .name:           _ZN4vllm18convert_fp8_kernelI14__hip_bfloat16hLNS_18Fp8KVCacheDataTypeE1EEEvPKT0_PT_fl
    .private_segment_fixed_size: 0
    .sgpr_count:     15
    .sgpr_spill_count: 0
    .symbol:         _ZN4vllm18convert_fp8_kernelI14__hip_bfloat16hLNS_18Fp8KVCacheDataTypeE1EEEvPKT0_PT_fl.kd
    .uniform_work_group_size: 1
    .uses_dynamic_stack: false
    .vgpr_count:     9
    .vgpr_spill_count: 0
    .wavefront_size: 32
    .workgroup_processor_mode: 1
  - .args:
      - .actual_access:  read_only
        .address_space:  global
        .offset:         0
        .size:           8
        .value_kind:     global_buffer
      - .actual_access:  write_only
        .address_space:  global
        .offset:         8
        .size:           8
        .value_kind:     global_buffer
      - .actual_access:  read_only
        .address_space:  global
        .offset:         16
        .size:           8
        .value_kind:     global_buffer
      - .actual_access:  read_only
        .address_space:  global
        .offset:         24
        .size:           8
        .value_kind:     global_buffer
      - .offset:         32
        .size:           4
        .value_kind:     by_value
      - .offset:         36
        .size:           4
        .value_kind:     by_value
      - .offset:         40
        .size:           8
        .value_kind:     by_value
      - .offset:         48
        .size:           8
        .value_kind:     by_value
      - .offset:         56
        .size:           8
        .value_kind:     by_value
      - .offset:         64
        .size:           8
        .value_kind:     by_value
      - .actual_access:  read_only
        .address_space:  global
        .offset:         72
        .size:           8
        .value_kind:     global_buffer
      - .actual_access:  read_only
        .address_space:  global
        .offset:         80
        .size:           8
        .value_kind:     global_buffer
      - .offset:         88
        .size:           4
        .value_kind:     hidden_block_count_x
      - .offset:         92
        .size:           4
        .value_kind:     hidden_block_count_y
      - .offset:         96
        .size:           4
        .value_kind:     hidden_block_count_z
      - .offset:         100
        .size:           2
        .value_kind:     hidden_group_size_x
      - .offset:         102
        .size:           2
        .value_kind:     hidden_group_size_y
      - .offset:         104
        .size:           2
        .value_kind:     hidden_group_size_z
      - .offset:         106
        .size:           2
        .value_kind:     hidden_remainder_x
      - .offset:         108
        .size:           2
        .value_kind:     hidden_remainder_y
      - .offset:         110
        .size:           2
        .value_kind:     hidden_remainder_z
      - .offset:         128
        .size:           8
        .value_kind:     hidden_global_offset_x
      - .offset:         136
        .size:           8
        .value_kind:     hidden_global_offset_y
      - .offset:         144
        .size:           8
        .value_kind:     hidden_global_offset_z
      - .offset:         152
        .size:           2
        .value_kind:     hidden_grid_dims
    .group_segment_fixed_size: 0
    .kernarg_segment_align: 8
    .kernarg_segment_size: 344
    .language:       OpenCL C
    .language_version:
      - 2
      - 0
    .max_flat_workgroup_size: 1024
    .name:           _ZN4vllm30gather_and_maybe_dequant_cacheIffLNS_18Fp8KVCacheDataTypeE0EEEvPKT0_PT_PKiS8_iillllPKfS8_
    .private_segment_fixed_size: 0
    .sgpr_count:     38
    .sgpr_spill_count: 0
    .symbol:         _ZN4vllm30gather_and_maybe_dequant_cacheIffLNS_18Fp8KVCacheDataTypeE0EEEvPKT0_PT_PKiS8_iillllPKfS8_.kd
    .uniform_work_group_size: 1
    .uses_dynamic_stack: false
    .vgpr_count:     6
    .vgpr_spill_count: 0
    .wavefront_size: 32
    .workgroup_processor_mode: 1
  - .args:
      - .actual_access:  read_only
        .address_space:  global
        .offset:         0
        .size:           8
        .value_kind:     global_buffer
      - .actual_access:  write_only
        .address_space:  global
        .offset:         8
        .size:           8
        .value_kind:     global_buffer
      - .actual_access:  read_only
        .address_space:  global
        .offset:         16
        .size:           8
        .value_kind:     global_buffer
      - .actual_access:  read_only
        .address_space:  global
        .offset:         24
        .size:           8
        .value_kind:     global_buffer
      - .offset:         32
        .size:           4
        .value_kind:     by_value
      - .offset:         36
        .size:           4
        .value_kind:     by_value
      - .offset:         40
        .size:           8
        .value_kind:     by_value
      - .offset:         48
        .size:           8
        .value_kind:     by_value
      - .offset:         56
        .size:           8
        .value_kind:     by_value
      - .offset:         64
        .size:           8
        .value_kind:     by_value
      - .actual_access:  read_only
        .address_space:  global
        .offset:         72
        .size:           8
        .value_kind:     global_buffer
      - .actual_access:  read_only
        .address_space:  global
        .offset:         80
        .size:           8
        .value_kind:     global_buffer
      - .offset:         88
        .size:           4
        .value_kind:     hidden_block_count_x
      - .offset:         92
        .size:           4
        .value_kind:     hidden_block_count_y
      - .offset:         96
        .size:           4
        .value_kind:     hidden_block_count_z
      - .offset:         100
        .size:           2
        .value_kind:     hidden_group_size_x
      - .offset:         102
        .size:           2
        .value_kind:     hidden_group_size_y
      - .offset:         104
        .size:           2
        .value_kind:     hidden_group_size_z
      - .offset:         106
        .size:           2
        .value_kind:     hidden_remainder_x
      - .offset:         108
        .size:           2
        .value_kind:     hidden_remainder_y
      - .offset:         110
        .size:           2
        .value_kind:     hidden_remainder_z
      - .offset:         128
        .size:           8
        .value_kind:     hidden_global_offset_x
      - .offset:         136
        .size:           8
        .value_kind:     hidden_global_offset_y
      - .offset:         144
        .size:           8
        .value_kind:     hidden_global_offset_z
      - .offset:         152
        .size:           2
        .value_kind:     hidden_grid_dims
    .group_segment_fixed_size: 0
    .kernarg_segment_align: 8
    .kernarg_segment_size: 344
    .language:       OpenCL C
    .language_version:
      - 2
      - 0
    .max_flat_workgroup_size: 1024
    .name:           _ZN4vllm30gather_and_maybe_dequant_cacheIttLNS_18Fp8KVCacheDataTypeE0EEEvPKT0_PT_PKiS8_iillllPKfS8_
    .private_segment_fixed_size: 0
    .sgpr_count:     38
    .sgpr_spill_count: 0
    .symbol:         _ZN4vllm30gather_and_maybe_dequant_cacheIttLNS_18Fp8KVCacheDataTypeE0EEEvPKT0_PT_PKiS8_iillllPKfS8_.kd
    .uniform_work_group_size: 1
    .uses_dynamic_stack: false
    .vgpr_count:     6
    .vgpr_spill_count: 0
    .wavefront_size: 32
    .workgroup_processor_mode: 1
  - .args:
      - .actual_access:  read_only
        .address_space:  global
        .offset:         0
        .size:           8
        .value_kind:     global_buffer
      - .actual_access:  write_only
        .address_space:  global
        .offset:         8
        .size:           8
        .value_kind:     global_buffer
      - .actual_access:  read_only
        .address_space:  global
        .offset:         16
        .size:           8
        .value_kind:     global_buffer
      - .actual_access:  read_only
        .address_space:  global
        .offset:         24
        .size:           8
        .value_kind:     global_buffer
      - .offset:         32
        .size:           4
        .value_kind:     by_value
      - .offset:         36
        .size:           4
        .value_kind:     by_value
      - .offset:         40
        .size:           8
        .value_kind:     by_value
      - .offset:         48
        .size:           8
        .value_kind:     by_value
      - .offset:         56
        .size:           8
        .value_kind:     by_value
      - .offset:         64
        .size:           8
        .value_kind:     by_value
      - .actual_access:  read_only
        .address_space:  global
        .offset:         72
        .size:           8
        .value_kind:     global_buffer
      - .actual_access:  read_only
        .address_space:  global
        .offset:         80
        .size:           8
        .value_kind:     global_buffer
      - .offset:         88
        .size:           4
        .value_kind:     hidden_block_count_x
      - .offset:         92
        .size:           4
        .value_kind:     hidden_block_count_y
      - .offset:         96
        .size:           4
        .value_kind:     hidden_block_count_z
      - .offset:         100
        .size:           2
        .value_kind:     hidden_group_size_x
      - .offset:         102
        .size:           2
        .value_kind:     hidden_group_size_y
      - .offset:         104
        .size:           2
        .value_kind:     hidden_group_size_z
      - .offset:         106
        .size:           2
        .value_kind:     hidden_remainder_x
      - .offset:         108
        .size:           2
        .value_kind:     hidden_remainder_y
      - .offset:         110
        .size:           2
        .value_kind:     hidden_remainder_z
      - .offset:         128
        .size:           8
        .value_kind:     hidden_global_offset_x
      - .offset:         136
        .size:           8
        .value_kind:     hidden_global_offset_y
      - .offset:         144
        .size:           8
        .value_kind:     hidden_global_offset_z
      - .offset:         152
        .size:           2
        .value_kind:     hidden_grid_dims
    .group_segment_fixed_size: 0
    .kernarg_segment_align: 8
    .kernarg_segment_size: 344
    .language:       OpenCL C
    .language_version:
      - 2
      - 0
    .max_flat_workgroup_size: 1024
    .name:           _ZN4vllm30gather_and_maybe_dequant_cacheI14__hip_bfloat16S1_LNS_18Fp8KVCacheDataTypeE0EEEvPKT0_PT_PKiS9_iillllPKfS9_
    .private_segment_fixed_size: 0
    .sgpr_count:     38
    .sgpr_spill_count: 0
    .symbol:         _ZN4vllm30gather_and_maybe_dequant_cacheI14__hip_bfloat16S1_LNS_18Fp8KVCacheDataTypeE0EEEvPKT0_PT_PKiS9_iillllPKfS9_.kd
    .uniform_work_group_size: 1
    .uses_dynamic_stack: false
    .vgpr_count:     6
    .vgpr_spill_count: 0
    .wavefront_size: 32
    .workgroup_processor_mode: 1
  - .args:
      - .actual_access:  read_only
        .address_space:  global
        .offset:         0
        .size:           8
        .value_kind:     global_buffer
      - .actual_access:  write_only
        .address_space:  global
        .offset:         8
        .size:           8
        .value_kind:     global_buffer
      - .actual_access:  read_only
        .address_space:  global
        .offset:         16
        .size:           8
        .value_kind:     global_buffer
      - .actual_access:  read_only
        .address_space:  global
        .offset:         24
        .size:           8
        .value_kind:     global_buffer
      - .offset:         32
        .size:           4
        .value_kind:     by_value
      - .offset:         36
        .size:           4
        .value_kind:     by_value
      - .offset:         40
        .size:           8
        .value_kind:     by_value
      - .offset:         48
        .size:           8
        .value_kind:     by_value
      - .offset:         56
        .size:           8
        .value_kind:     by_value
      - .offset:         64
        .size:           8
        .value_kind:     by_value
      - .actual_access:  read_only
        .address_space:  global
        .offset:         72
        .size:           8
        .value_kind:     global_buffer
      - .actual_access:  read_only
        .address_space:  global
        .offset:         80
        .size:           8
        .value_kind:     global_buffer
      - .offset:         88
        .size:           4
        .value_kind:     hidden_block_count_x
      - .offset:         92
        .size:           4
        .value_kind:     hidden_block_count_y
      - .offset:         96
        .size:           4
        .value_kind:     hidden_block_count_z
      - .offset:         100
        .size:           2
        .value_kind:     hidden_group_size_x
      - .offset:         102
        .size:           2
        .value_kind:     hidden_group_size_y
      - .offset:         104
        .size:           2
        .value_kind:     hidden_group_size_z
      - .offset:         106
        .size:           2
        .value_kind:     hidden_remainder_x
      - .offset:         108
        .size:           2
        .value_kind:     hidden_remainder_y
      - .offset:         110
        .size:           2
        .value_kind:     hidden_remainder_z
      - .offset:         128
        .size:           8
        .value_kind:     hidden_global_offset_x
      - .offset:         136
        .size:           8
        .value_kind:     hidden_global_offset_y
      - .offset:         144
        .size:           8
        .value_kind:     hidden_global_offset_z
      - .offset:         152
        .size:           2
        .value_kind:     hidden_grid_dims
    .group_segment_fixed_size: 0
    .kernarg_segment_align: 8
    .kernarg_segment_size: 344
    .language:       OpenCL C
    .language_version:
      - 2
      - 0
    .max_flat_workgroup_size: 1024
    .name:           _ZN4vllm30gather_and_maybe_dequant_cacheIfhLNS_18Fp8KVCacheDataTypeE1EEEvPKT0_PT_PKiS8_iillllPKfS8_
    .private_segment_fixed_size: 0
    .sgpr_count:     41
    .sgpr_spill_count: 0
    .symbol:         _ZN4vllm30gather_and_maybe_dequant_cacheIfhLNS_18Fp8KVCacheDataTypeE1EEEvPKT0_PT_PKiS8_iillllPKfS8_.kd
    .uniform_work_group_size: 1
    .uses_dynamic_stack: false
    .vgpr_count:     5
    .vgpr_spill_count: 0
    .wavefront_size: 32
    .workgroup_processor_mode: 1
  - .args:
      - .actual_access:  read_only
        .address_space:  global
        .offset:         0
        .size:           8
        .value_kind:     global_buffer
      - .actual_access:  write_only
        .address_space:  global
        .offset:         8
        .size:           8
        .value_kind:     global_buffer
      - .actual_access:  read_only
        .address_space:  global
        .offset:         16
        .size:           8
        .value_kind:     global_buffer
      - .actual_access:  read_only
        .address_space:  global
        .offset:         24
        .size:           8
        .value_kind:     global_buffer
      - .offset:         32
        .size:           4
        .value_kind:     by_value
      - .offset:         36
        .size:           4
        .value_kind:     by_value
      - .offset:         40
        .size:           8
        .value_kind:     by_value
      - .offset:         48
        .size:           8
        .value_kind:     by_value
      - .offset:         56
        .size:           8
        .value_kind:     by_value
      - .offset:         64
        .size:           8
        .value_kind:     by_value
      - .actual_access:  read_only
        .address_space:  global
        .offset:         72
        .size:           8
        .value_kind:     global_buffer
      - .actual_access:  read_only
        .address_space:  global
        .offset:         80
        .size:           8
        .value_kind:     global_buffer
      - .offset:         88
        .size:           4
        .value_kind:     hidden_block_count_x
      - .offset:         92
        .size:           4
        .value_kind:     hidden_block_count_y
      - .offset:         96
        .size:           4
        .value_kind:     hidden_block_count_z
      - .offset:         100
        .size:           2
        .value_kind:     hidden_group_size_x
      - .offset:         102
        .size:           2
        .value_kind:     hidden_group_size_y
      - .offset:         104
        .size:           2
        .value_kind:     hidden_group_size_z
      - .offset:         106
        .size:           2
        .value_kind:     hidden_remainder_x
      - .offset:         108
        .size:           2
        .value_kind:     hidden_remainder_y
      - .offset:         110
        .size:           2
        .value_kind:     hidden_remainder_z
      - .offset:         128
        .size:           8
        .value_kind:     hidden_global_offset_x
      - .offset:         136
        .size:           8
        .value_kind:     hidden_global_offset_y
      - .offset:         144
        .size:           8
        .value_kind:     hidden_global_offset_z
      - .offset:         152
        .size:           2
        .value_kind:     hidden_grid_dims
    .group_segment_fixed_size: 0
    .kernarg_segment_align: 8
    .kernarg_segment_size: 344
    .language:       OpenCL C
    .language_version:
      - 2
      - 0
    .max_flat_workgroup_size: 1024
    .name:           _ZN4vllm30gather_and_maybe_dequant_cacheIthLNS_18Fp8KVCacheDataTypeE1EEEvPKT0_PT_PKiS8_iillllPKfS8_
    .private_segment_fixed_size: 0
    .sgpr_count:     41
    .sgpr_spill_count: 0
    .symbol:         _ZN4vllm30gather_and_maybe_dequant_cacheIthLNS_18Fp8KVCacheDataTypeE1EEEvPKT0_PT_PKiS8_iillllPKfS8_.kd
    .uniform_work_group_size: 1
    .uses_dynamic_stack: false
    .vgpr_count:     5
    .vgpr_spill_count: 0
    .wavefront_size: 32
    .workgroup_processor_mode: 1
  - .args:
      - .actual_access:  read_only
        .address_space:  global
        .offset:         0
        .size:           8
        .value_kind:     global_buffer
      - .actual_access:  write_only
        .address_space:  global
        .offset:         8
        .size:           8
        .value_kind:     global_buffer
      - .actual_access:  read_only
        .address_space:  global
        .offset:         16
        .size:           8
        .value_kind:     global_buffer
      - .actual_access:  read_only
        .address_space:  global
        .offset:         24
        .size:           8
        .value_kind:     global_buffer
      - .offset:         32
        .size:           4
        .value_kind:     by_value
      - .offset:         36
        .size:           4
        .value_kind:     by_value
      - .offset:         40
        .size:           8
        .value_kind:     by_value
      - .offset:         48
        .size:           8
        .value_kind:     by_value
      - .offset:         56
        .size:           8
        .value_kind:     by_value
      - .offset:         64
        .size:           8
        .value_kind:     by_value
      - .actual_access:  read_only
        .address_space:  global
        .offset:         72
        .size:           8
        .value_kind:     global_buffer
      - .actual_access:  read_only
        .address_space:  global
        .offset:         80
        .size:           8
        .value_kind:     global_buffer
      - .offset:         88
        .size:           4
        .value_kind:     hidden_block_count_x
      - .offset:         92
        .size:           4
        .value_kind:     hidden_block_count_y
      - .offset:         96
        .size:           4
        .value_kind:     hidden_block_count_z
      - .offset:         100
        .size:           2
        .value_kind:     hidden_group_size_x
      - .offset:         102
        .size:           2
        .value_kind:     hidden_group_size_y
      - .offset:         104
        .size:           2
        .value_kind:     hidden_group_size_z
      - .offset:         106
        .size:           2
        .value_kind:     hidden_remainder_x
      - .offset:         108
        .size:           2
        .value_kind:     hidden_remainder_y
      - .offset:         110
        .size:           2
        .value_kind:     hidden_remainder_z
      - .offset:         128
        .size:           8
        .value_kind:     hidden_global_offset_x
      - .offset:         136
        .size:           8
        .value_kind:     hidden_global_offset_y
      - .offset:         144
        .size:           8
        .value_kind:     hidden_global_offset_z
      - .offset:         152
        .size:           2
        .value_kind:     hidden_grid_dims
    .group_segment_fixed_size: 0
    .kernarg_segment_align: 8
    .kernarg_segment_size: 344
    .language:       OpenCL C
    .language_version:
      - 2
      - 0
    .max_flat_workgroup_size: 1024
    .name:           _ZN4vllm30gather_and_maybe_dequant_cacheI14__hip_bfloat16hLNS_18Fp8KVCacheDataTypeE1EEEvPKT0_PT_PKiS9_iillllPKfS9_
    .private_segment_fixed_size: 0
    .sgpr_count:     41
    .sgpr_spill_count: 0
    .symbol:         _ZN4vllm30gather_and_maybe_dequant_cacheI14__hip_bfloat16hLNS_18Fp8KVCacheDataTypeE1EEEvPKT0_PT_PKiS9_iillllPKfS9_.kd
    .uniform_work_group_size: 1
    .uses_dynamic_stack: false
    .vgpr_count:     7
    .vgpr_spill_count: 0
    .wavefront_size: 32
    .workgroup_processor_mode: 1
  - .args:
      - .actual_access:  read_only
        .address_space:  global
        .offset:         0
        .size:           8
        .value_kind:     global_buffer
      - .actual_access:  write_only
        .address_space:  global
        .offset:         8
        .size:           8
        .value_kind:     global_buffer
      - .actual_access:  read_only
        .address_space:  global
        .offset:         16
        .size:           8
        .value_kind:     global_buffer
      - .actual_access:  read_only
        .address_space:  global
        .offset:         24
        .size:           8
        .value_kind:     global_buffer
      - .offset:         32
        .size:           4
        .value_kind:     by_value
      - .offset:         36
        .size:           4
        .value_kind:     by_value
      - .offset:         40
        .size:           8
        .value_kind:     by_value
      - .offset:         48
        .size:           8
        .value_kind:     by_value
      - .offset:         56
        .size:           8
        .value_kind:     by_value
      - .offset:         64
        .size:           8
        .value_kind:     by_value
      - .actual_access:  read_only
        .address_space:  global
        .offset:         72
        .size:           8
        .value_kind:     global_buffer
      - .offset:         80
        .size:           4
        .value_kind:     hidden_block_count_x
      - .offset:         84
        .size:           4
        .value_kind:     hidden_block_count_y
      - .offset:         88
        .size:           4
        .value_kind:     hidden_block_count_z
      - .offset:         92
        .size:           2
        .value_kind:     hidden_group_size_x
      - .offset:         94
        .size:           2
        .value_kind:     hidden_group_size_y
      - .offset:         96
        .size:           2
        .value_kind:     hidden_group_size_z
      - .offset:         98
        .size:           2
        .value_kind:     hidden_remainder_x
      - .offset:         100
        .size:           2
        .value_kind:     hidden_remainder_y
      - .offset:         102
        .size:           2
        .value_kind:     hidden_remainder_z
      - .offset:         120
        .size:           8
        .value_kind:     hidden_global_offset_x
      - .offset:         128
        .size:           8
        .value_kind:     hidden_global_offset_y
      - .offset:         136
        .size:           8
        .value_kind:     hidden_global_offset_z
      - .offset:         144
        .size:           2
        .value_kind:     hidden_grid_dims
    .group_segment_fixed_size: 0
    .kernarg_segment_align: 8
    .kernarg_segment_size: 336
    .language:       OpenCL C
    .language_version:
      - 2
      - 0
    .max_flat_workgroup_size: 1024
    .name:           _ZN4vllm15cp_gather_cacheIjEEvPKT_PS1_PKiS6_iillllS6_
    .private_segment_fixed_size: 0
    .sgpr_count:     32
    .sgpr_spill_count: 0
    .symbol:         _ZN4vllm15cp_gather_cacheIjEEvPKT_PS1_PKiS6_iillllS6_.kd
    .uniform_work_group_size: 1
    .uses_dynamic_stack: false
    .vgpr_count:     6
    .vgpr_spill_count: 0
    .wavefront_size: 32
    .workgroup_processor_mode: 1
  - .args:
      - .actual_access:  read_only
        .address_space:  global
        .offset:         0
        .size:           8
        .value_kind:     global_buffer
      - .actual_access:  write_only
        .address_space:  global
        .offset:         8
        .size:           8
        .value_kind:     global_buffer
      - .actual_access:  read_only
        .address_space:  global
        .offset:         16
        .size:           8
        .value_kind:     global_buffer
      - .actual_access:  read_only
        .address_space:  global
        .offset:         24
        .size:           8
        .value_kind:     global_buffer
      - .offset:         32
        .size:           4
        .value_kind:     by_value
      - .offset:         36
        .size:           4
        .value_kind:     by_value
      - .offset:         40
        .size:           8
        .value_kind:     by_value
      - .offset:         48
        .size:           8
        .value_kind:     by_value
      - .offset:         56
        .size:           8
        .value_kind:     by_value
      - .offset:         64
        .size:           8
        .value_kind:     by_value
      - .actual_access:  read_only
        .address_space:  global
        .offset:         72
        .size:           8
        .value_kind:     global_buffer
      - .offset:         80
        .size:           4
        .value_kind:     hidden_block_count_x
      - .offset:         84
        .size:           4
        .value_kind:     hidden_block_count_y
      - .offset:         88
        .size:           4
        .value_kind:     hidden_block_count_z
      - .offset:         92
        .size:           2
        .value_kind:     hidden_group_size_x
      - .offset:         94
        .size:           2
        .value_kind:     hidden_group_size_y
      - .offset:         96
        .size:           2
        .value_kind:     hidden_group_size_z
      - .offset:         98
        .size:           2
        .value_kind:     hidden_remainder_x
      - .offset:         100
        .size:           2
        .value_kind:     hidden_remainder_y
      - .offset:         102
        .size:           2
        .value_kind:     hidden_remainder_z
      - .offset:         120
        .size:           8
        .value_kind:     hidden_global_offset_x
      - .offset:         128
        .size:           8
        .value_kind:     hidden_global_offset_y
      - .offset:         136
        .size:           8
        .value_kind:     hidden_global_offset_z
      - .offset:         144
        .size:           2
        .value_kind:     hidden_grid_dims
    .group_segment_fixed_size: 0
    .kernarg_segment_align: 8
    .kernarg_segment_size: 336
    .language:       OpenCL C
    .language_version:
      - 2
      - 0
    .max_flat_workgroup_size: 1024
    .name:           _ZN4vllm15cp_gather_cacheItEEvPKT_PS1_PKiS6_iillllS6_
    .private_segment_fixed_size: 0
    .sgpr_count:     32
    .sgpr_spill_count: 0
    .symbol:         _ZN4vllm15cp_gather_cacheItEEvPKT_PS1_PKiS6_iillllS6_.kd
    .uniform_work_group_size: 1
    .uses_dynamic_stack: false
    .vgpr_count:     6
    .vgpr_spill_count: 0
    .wavefront_size: 32
    .workgroup_processor_mode: 1
  - .args:
      - .actual_access:  read_only
        .address_space:  global
        .offset:         0
        .size:           8
        .value_kind:     global_buffer
      - .actual_access:  write_only
        .address_space:  global
        .offset:         8
        .size:           8
        .value_kind:     global_buffer
      - .actual_access:  read_only
        .address_space:  global
        .offset:         16
        .size:           8
        .value_kind:     global_buffer
      - .actual_access:  read_only
        .address_space:  global
        .offset:         24
        .size:           8
        .value_kind:     global_buffer
      - .offset:         32
        .size:           4
        .value_kind:     by_value
      - .offset:         36
        .size:           4
        .value_kind:     by_value
      - .offset:         40
        .size:           8
        .value_kind:     by_value
      - .offset:         48
        .size:           8
        .value_kind:     by_value
      - .offset:         56
        .size:           8
        .value_kind:     by_value
      - .offset:         64
        .size:           8
        .value_kind:     by_value
      - .actual_access:  read_only
        .address_space:  global
        .offset:         72
        .size:           8
        .value_kind:     global_buffer
      - .offset:         80
        .size:           4
        .value_kind:     hidden_block_count_x
      - .offset:         84
        .size:           4
        .value_kind:     hidden_block_count_y
      - .offset:         88
        .size:           4
        .value_kind:     hidden_block_count_z
      - .offset:         92
        .size:           2
        .value_kind:     hidden_group_size_x
      - .offset:         94
        .size:           2
        .value_kind:     hidden_group_size_y
      - .offset:         96
        .size:           2
        .value_kind:     hidden_group_size_z
      - .offset:         98
        .size:           2
        .value_kind:     hidden_remainder_x
      - .offset:         100
        .size:           2
        .value_kind:     hidden_remainder_y
      - .offset:         102
        .size:           2
        .value_kind:     hidden_remainder_z
      - .offset:         120
        .size:           8
        .value_kind:     hidden_global_offset_x
      - .offset:         128
        .size:           8
        .value_kind:     hidden_global_offset_y
      - .offset:         136
        .size:           8
        .value_kind:     hidden_global_offset_z
      - .offset:         144
        .size:           2
        .value_kind:     hidden_grid_dims
    .group_segment_fixed_size: 0
    .kernarg_segment_align: 8
    .kernarg_segment_size: 336
    .language:       OpenCL C
    .language_version:
      - 2
      - 0
    .max_flat_workgroup_size: 1024
    .name:           _ZN4vllm15cp_gather_cacheIhEEvPKT_PS1_PKiS6_iillllS6_
    .private_segment_fixed_size: 0
    .sgpr_count:     32
    .sgpr_spill_count: 0
    .symbol:         _ZN4vllm15cp_gather_cacheIhEEvPKT_PS1_PKiS6_iillllS6_.kd
    .uniform_work_group_size: 1
    .uses_dynamic_stack: false
    .vgpr_count:     6
    .vgpr_spill_count: 0
    .wavefront_size: 32
    .workgroup_processor_mode: 1
amdhsa.target:   amdgcn-amd-amdhsa--gfx1201
amdhsa.version:
  - 1
  - 2
...

	.end_amdgpu_metadata
